;; amdgpu-corpus repo=ROCm/rocFFT kind=compiled arch=gfx1201 opt=O3
	.text
	.amdgcn_target "amdgcn-amd-amdhsa--gfx1201"
	.amdhsa_code_object_version 6
	.protected	bluestein_single_fwd_len1950_dim1_half_op_CI_CI ; -- Begin function bluestein_single_fwd_len1950_dim1_half_op_CI_CI
	.globl	bluestein_single_fwd_len1950_dim1_half_op_CI_CI
	.p2align	8
	.type	bluestein_single_fwd_len1950_dim1_half_op_CI_CI,@function
bluestein_single_fwd_len1950_dim1_half_op_CI_CI: ; @bluestein_single_fwd_len1950_dim1_half_op_CI_CI
; %bb.0:
	s_load_b128 s[8:11], s[0:1], 0x28
	v_mul_u32_u24_e32 v1, 0x151, v0
	s_mov_b32 s2, exec_lo
	v_mov_b32_e32 v17, 0
	s_delay_alu instid0(VALU_DEP_2) | instskip(NEXT) | instid1(VALU_DEP_1)
	v_lshrrev_b32_e32 v1, 16, v1
	v_add_nc_u32_e32 v16, ttmp9, v1
	s_wait_kmcnt 0x0
	s_delay_alu instid0(VALU_DEP_1)
	v_cmpx_gt_u64_e64 s[8:9], v[16:17]
	s_cbranch_execz .LBB0_23
; %bb.1:
	s_clause 0x1
	s_load_b64 s[20:21], s[0:1], 0x0
	s_load_b64 s[8:9], s[0:1], 0x38
	v_mul_lo_u16 v1, 0xc3, v1
	s_delay_alu instid0(VALU_DEP_1) | instskip(NEXT) | instid1(VALU_DEP_1)
	v_sub_nc_u16 v0, v0, v1
	v_and_b32_e32 v38, 0xffff, v0
	v_cmp_gt_u16_e32 vcc_lo, 0x96, v0
	s_delay_alu instid0(VALU_DEP_2)
	v_lshlrev_b32_e32 v37, 2, v38
	s_and_saveexec_b32 s3, vcc_lo
	s_cbranch_execz .LBB0_3
; %bb.2:
	s_load_b64 s[4:5], s[0:1], 0x18
	s_delay_alu instid0(VALU_DEP_1)
	v_add_nc_u32_e32 v29, 0xe00, v37
	s_wait_kmcnt 0x0
	s_load_b128 s[4:7], s[4:5], 0x0
	s_wait_kmcnt 0x0
	v_mad_co_u64_u32 v[0:1], null, s6, v16, 0
	v_mad_co_u64_u32 v[2:3], null, s4, v38, 0
	s_delay_alu instid0(VALU_DEP_1) | instskip(NEXT) | instid1(VALU_DEP_1)
	v_mad_co_u64_u32 v[4:5], null, s7, v16, v[1:2]
	v_mad_co_u64_u32 v[5:6], null, s5, v38, v[3:4]
	v_mov_b32_e32 v1, v4
	s_mul_u64 s[4:5], s[4:5], 0x258
	s_delay_alu instid0(VALU_DEP_1) | instskip(NEXT) | instid1(VALU_DEP_3)
	v_lshlrev_b64_e32 v[0:1], 2, v[0:1]
	v_mov_b32_e32 v3, v5
	s_clause 0x7
	global_load_b32 v4, v37, s[20:21]
	global_load_b32 v5, v37, s[20:21] offset:600
	global_load_b32 v6, v37, s[20:21] offset:1200
	;; [unrolled: 1-line block ×7, first 2 shown]
	v_add_co_u32 v0, s2, s10, v0
	v_lshlrev_b64_e32 v[2:3], 2, v[2:3]
	v_add_co_ci_u32_e64 v1, s2, s11, v1, s2
	s_delay_alu instid0(VALU_DEP_2) | instskip(SKIP_1) | instid1(VALU_DEP_2)
	v_add_co_u32 v0, s2, v0, v2
	s_wait_alu 0xf1ff
	v_add_co_ci_u32_e64 v1, s2, v1, v3, s2
	global_load_b32 v12, v[0:1], off
	s_wait_alu 0xfffe
	v_add_co_u32 v0, s2, v0, s4
	s_wait_alu 0xf1ff
	v_add_co_ci_u32_e64 v1, s2, s5, v1, s2
	s_clause 0x3
	global_load_b32 v13, v37, s[20:21] offset:4800
	global_load_b32 v14, v37, s[20:21] offset:5400
	;; [unrolled: 1-line block ×4, first 2 shown]
	global_load_b32 v18, v[0:1], off
	v_add_co_u32 v0, s2, v0, s4
	s_wait_alu 0xf1ff
	v_add_co_ci_u32_e64 v1, s2, s5, v1, s2
	global_load_b32 v19, v37, s[20:21] offset:7200
	v_add_co_u32 v2, s2, v0, s4
	s_wait_alu 0xf1ff
	v_add_co_ci_u32_e64 v3, s2, s5, v1, s2
	global_load_b32 v20, v[0:1], off
	v_add_co_u32 v0, s2, v2, s4
	s_wait_alu 0xf1ff
	v_add_co_ci_u32_e64 v1, s2, s5, v3, s2
	s_clause 0x1
	global_load_b32 v21, v[2:3], off
	global_load_b32 v22, v[0:1], off
	v_add_co_u32 v0, s2, v0, s4
	s_wait_alu 0xf1ff
	v_add_co_ci_u32_e64 v1, s2, s5, v1, s2
	s_delay_alu instid0(VALU_DEP_2) | instskip(SKIP_1) | instid1(VALU_DEP_2)
	v_add_co_u32 v2, s2, v0, s4
	s_wait_alu 0xf1ff
	v_add_co_ci_u32_e64 v3, s2, s5, v1, s2
	global_load_b32 v23, v[0:1], off
	v_add_co_u32 v0, s2, v2, s4
	s_wait_alu 0xf1ff
	v_add_co_ci_u32_e64 v1, s2, s5, v3, s2
	global_load_b32 v24, v[2:3], off
	global_load_b32 v25, v[0:1], off
	v_add_co_u32 v0, s2, v0, s4
	s_wait_alu 0xf1ff
	v_add_co_ci_u32_e64 v1, s2, s5, v1, s2
	s_delay_alu instid0(VALU_DEP_2) | instskip(SKIP_1) | instid1(VALU_DEP_2)
	v_add_co_u32 v2, s2, v0, s4
	s_wait_alu 0xf1ff
	v_add_co_ci_u32_e64 v3, s2, s5, v1, s2
	global_load_b32 v26, v[0:1], off
	v_add_co_u32 v0, s2, v2, s4
	s_wait_alu 0xf1ff
	v_add_co_ci_u32_e64 v1, s2, s5, v3, s2
	global_load_b32 v27, v[2:3], off
	;; [unrolled: 4-line block ×4, first 2 shown]
	global_load_b32 v0, v[0:1], off
	v_add_nc_u32_e32 v1, 0x400, v37
	v_add_nc_u32_e32 v3, 0x800, v37
	s_wait_loadcnt 0x19
	v_lshrrev_b32_e32 v30, 16, v4
	s_wait_loadcnt 0x18
	v_lshrrev_b32_e32 v31, 16, v5
	;; [unrolled: 2-line block ×9, first 2 shown]
	v_mul_f16_e32 v45, v30, v12
	s_wait_loadcnt 0x10
	v_lshrrev_b32_e32 v40, 16, v13
	s_wait_loadcnt 0xf
	v_lshrrev_b32_e32 v42, 16, v14
	;; [unrolled: 2-line block ×3, first 2 shown]
	v_mul_f16_e32 v30, v30, v41
	s_wait_loadcnt 0xc
	v_lshrrev_b32_e32 v46, 16, v18
	v_mul_f16_e32 v48, v31, v18
	v_fma_f16 v41, v4, v41, -v45
	v_lshrrev_b32_e32 v44, 16, v17
	v_fmac_f16_e32 v30, v4, v12
	v_mul_f16_e32 v4, v31, v46
	v_fma_f16 v31, v5, v46, -v48
	s_wait_loadcnt 0xb
	v_lshrrev_b32_e32 v47, 16, v19
	s_wait_loadcnt 0xa
	v_lshrrev_b32_e32 v12, 16, v20
	v_mul_f16_e32 v45, v32, v20
	v_fmac_f16_e32 v4, v5, v18
	v_pack_b32_f16 v30, v30, v41
	s_delay_alu instid0(VALU_DEP_4)
	v_mul_f16_e32 v5, v32, v12
	s_wait_loadcnt 0x9
	v_lshrrev_b32_e32 v18, 16, v21
	v_mul_f16_e32 v32, v33, v21
	v_fma_f16 v12, v6, v12, -v45
	v_pack_b32_f16 v4, v4, v31
	v_fmac_f16_e32 v5, v6, v20
	v_mul_f16_e32 v6, v33, v18
	s_wait_loadcnt 0x8
	v_lshrrev_b32_e32 v20, 16, v22
	v_fma_f16 v18, v7, v18, -v32
	v_mul_f16_e32 v31, v34, v22
	ds_store_2addr_b32 v37, v30, v4 offset1:150
	v_pack_b32_f16 v4, v5, v12
	v_fmac_f16_e32 v6, v7, v21
	v_mul_f16_e32 v5, v34, v20
	s_wait_loadcnt 0x7
	v_lshrrev_b32_e32 v7, 16, v23
	v_mul_f16_e32 v12, v35, v23
	v_fma_f16 v20, v8, v20, -v31
	v_pack_b32_f16 v6, v6, v18
	v_fmac_f16_e32 v5, v8, v22
	v_mul_f16_e32 v8, v35, v7
	v_fma_f16 v7, v9, v7, -v12
	s_wait_loadcnt 0x6
	v_lshrrev_b32_e32 v12, 16, v24
	ds_store_2addr_b32 v1, v4, v6 offset0:44 offset1:194
	v_pack_b32_f16 v1, v5, v20
	v_fmac_f16_e32 v8, v9, v23
	s_wait_loadcnt 0x5
	v_lshrrev_b32_e32 v5, 16, v25
	v_mul_f16_e32 v18, v36, v24
	v_mul_f16_e32 v4, v36, v12
	;; [unrolled: 1-line block ×3, first 2 shown]
	v_pack_b32_f16 v7, v8, v7
	v_mul_f16_e32 v8, v39, v5
	v_fma_f16 v6, v10, v12, -v18
	v_fmac_f16_e32 v4, v10, v24
	s_wait_loadcnt 0x4
	v_lshrrev_b32_e32 v10, 16, v26
	v_fma_f16 v5, v11, v5, -v9
	v_mul_f16_e32 v9, v40, v26
	v_fmac_f16_e32 v8, v11, v25
	s_wait_loadcnt 0x3
	v_lshrrev_b32_e32 v11, 16, v27
	v_pack_b32_f16 v4, v4, v6
	v_mul_f16_e32 v6, v40, v10
	v_fma_f16 v9, v13, v10, -v9
	v_mul_f16_e32 v10, v42, v27
	v_pack_b32_f16 v5, v8, v5
	v_mul_f16_e32 v8, v42, v11
	v_fmac_f16_e32 v6, v13, v26
	s_wait_loadcnt 0x2
	v_lshrrev_b32_e32 v12, 16, v28
	v_fma_f16 v10, v14, v11, -v10
	v_mul_f16_e32 v11, v43, v28
	v_fmac_f16_e32 v8, v14, v27
	s_wait_loadcnt 0x1
	v_lshrrev_b32_e32 v13, 16, v2
	s_wait_loadcnt 0x0
	v_lshrrev_b32_e32 v14, 16, v0
	v_pack_b32_f16 v6, v6, v9
	v_mul_f16_e32 v9, v43, v12
	v_fma_f16 v11, v15, v12, -v11
	v_mul_f16_e32 v12, v44, v2
	v_pack_b32_f16 v8, v8, v10
	v_mul_f16_e32 v10, v44, v13
	v_mul_f16_e32 v18, v47, v14
	v_mul_f16_e32 v20, v47, v0
	v_fmac_f16_e32 v9, v15, v28
	v_fma_f16 v12, v17, v13, -v12
	v_fmac_f16_e32 v10, v17, v2
	v_add_nc_u32_e32 v2, 0x1200, v37
	v_fmac_f16_e32 v18, v19, v0
	v_fma_f16 v0, v19, v14, -v20
	v_pack_b32_f16 v9, v9, v11
	v_pack_b32_f16 v10, v10, v12
	v_add_nc_u32_e32 v11, 0x1600, v37
	s_delay_alu instid0(VALU_DEP_4)
	v_pack_b32_f16 v0, v18, v0
	ds_store_2addr_b32 v3, v1, v7 offset0:88 offset1:238
	ds_store_2addr_b32 v29, v4, v5 offset0:4 offset1:154
	;; [unrolled: 1-line block ×4, first 2 shown]
	ds_store_b32 v37, v0 offset:7200
.LBB0_3:
	s_or_b32 exec_lo, exec_lo, s3
	s_clause 0x1
	s_load_b64 s[4:5], s[0:1], 0x20
	s_load_b64 s[2:3], s[0:1], 0x8
	v_mov_b32_e32 v4, 0
                                        ; kill: def $vgpr0 killed $sgpr0 killed $exec
	global_wb scope:SCOPE_SE
	s_wait_dscnt 0x0
	s_wait_kmcnt 0x0
	s_barrier_signal -1
	s_barrier_wait -1
	global_inv scope:SCOPE_SE
                                        ; implicit-def: $vgpr12
                                        ; implicit-def: $vgpr1
                                        ; implicit-def: $vgpr3
                                        ; implicit-def: $vgpr7
                                        ; implicit-def: $vgpr9
                                        ; implicit-def: $vgpr11
	s_and_saveexec_b32 s0, vcc_lo
	s_cbranch_execz .LBB0_5
; %bb.4:
	v_add_nc_u32_e32 v0, 0x400, v37
	v_add_nc_u32_e32 v1, 0x800, v37
	v_add_nc_u32_e32 v2, 0xe00, v37
	v_add_nc_u32_e32 v3, 0x1200, v37
	v_add_nc_u32_e32 v12, 0x1600, v37
	ds_load_2addr_b32 v[4:5], v37 offset1:150
	ds_load_2addr_b32 v[10:11], v0 offset0:44 offset1:194
	ds_load_2addr_b32 v[8:9], v1 offset0:88 offset1:238
	;; [unrolled: 1-line block ×5, first 2 shown]
	ds_load_b32 v12, v37 offset:7200
.LBB0_5:
	s_wait_alu 0xfffe
	s_or_b32 exec_lo, exec_lo, s0
	s_wait_dscnt 0x0
	v_pk_add_f16 v13, v5, v12 neg_lo:[0,1] neg_hi:[0,1]
	v_pk_add_f16 v15, v12, v5
	v_pk_add_f16 v14, v10, v1 neg_lo:[0,1] neg_hi:[0,1]
	v_pk_add_f16 v17, v1, v10
	v_lshrrev_b32_e32 v21, 16, v4
	v_lshrrev_b32_e32 v71, 16, v13
	v_pk_mul_f16 v18, 0x3b15388b, v15
	v_lshrrev_b32_e32 v68, 16, v14
	v_lshrrev_b32_e32 v27, 16, v15
	v_mul_f16_e32 v51, 0xba95, v13
	v_mul_f16_e32 v39, 0xb770, v71
	v_pk_fma_f16 v33, 0xba95b770, v13, v18 op_sel:[0,0,1] op_sel_hi:[1,1,0] neg_lo:[0,1,0] neg_hi:[0,1,0]
	v_mul_f16_e32 v56, 0xbbf1, v71
	v_pk_fma_f16 v34, 0xba95b770, v13, v18 op_sel:[0,0,1] op_sel_hi:[1,1,0]
	v_mul_f16_e32 v43, 0xba95, v68
	v_fmamk_f16 v18, v15, 0x3b15, v39
	v_fma_f16 v19, v27, 0x388b, -v51
	v_fmamk_f16 v20, v15, 0x2fb7, v56
	v_lshrrev_b32_e32 v28, 16, v17
	v_fmamk_f16 v24, v17, 0x388b, v43
	v_add_f16_e32 v23, v18, v4
	v_pk_add_f16 v18, v11, v0 neg_lo:[0,1] neg_hi:[0,1]
	v_mul_f16_e32 v55, 0xbb7b, v14
	v_mul_f16_e32 v64, 0xb3a8, v68
	;; [unrolled: 1-line block ×3, first 2 shown]
	v_add_f16_e32 v25, v19, v21
	v_add_f16_e32 v20, v20, v4
	;; [unrolled: 1-line block ×3, first 2 shown]
	v_pk_mul_f16 v24, 0x388bb5ac, v17
	v_lshrrev_b32_e32 v73, 16, v18
	v_fma_f16 v26, v28, 0xb5ac, -v55
	v_fmamk_f16 v29, v17, 0xbbc4, v64
	v_fma_f16 v22, v27, 0x2fb7, -v65
	v_mul_f16_e32 v74, 0xb3a8, v14
	v_pk_add_f16 v19, v0, v11
	v_mul_f16_e32 v44, 0xbbf1, v73
	v_pk_fma_f16 v45, 0xbb7bba95, v14, v24 op_sel:[0,0,1] op_sel_hi:[1,1,0] neg_lo:[0,1,0] neg_hi:[0,1,0]
	v_pk_fma_f16 v46, 0xbb7bba95, v14, v24 op_sel:[0,0,1] op_sel_hi:[1,1,0]
	v_add_f16_e32 v24, v26, v25
	v_add_f16_e32 v25, v29, v20
	v_pk_add_f16 v20, v8, v3 neg_lo:[0,1] neg_hi:[0,1]
	v_add_f16_e32 v22, v22, v21
	v_fma_f16 v30, v28, 0xbbc4, -v74
	v_fmamk_f16 v31, v19, 0x2fb7, v44
	v_lshrrev_b32_e32 v29, 16, v19
	v_mul_f16_e32 v60, 0xb3a8, v18
	v_lshrrev_b32_e32 v75, 16, v20
	v_add_f16_e32 v26, v30, v22
	v_add_f16_e32 v23, v31, v23
	v_pk_mul_f16 v30, 0x2fb7bbc4, v19
	v_mul_f16_e32 v66, 0x3b7b, v73
	v_mul_f16_e32 v77, 0x3b7b, v18
	v_fma_f16 v31, v29, 0xbbc4, -v60
	v_pk_add_f16 v22, v3, v8
	v_mul_f16_e32 v49, 0xbb7b, v75
	v_pk_fma_f16 v48, 0xb3a8bbf1, v18, v30 op_sel:[0,0,1] op_sel_hi:[1,1,0] neg_lo:[0,1,0] neg_hi:[0,1,0]
	v_fmamk_f16 v32, v19, 0xb5ac, v66
	v_fma_f16 v35, v29, 0xb5ac, -v77
	v_pk_fma_f16 v50, 0xb3a8bbf1, v18, v30 op_sel:[0,0,1] op_sel_hi:[1,1,0]
	v_add_f16_e32 v30, v31, v24
	v_fmamk_f16 v24, v22, 0xb5ac, v49
	v_add_f16_e32 v25, v32, v25
	v_add_f16_e32 v26, v35, v26
	v_pk_mul_f16 v32, 0xb5acb9fd, v22
	v_lshrrev_b32_e32 v31, 16, v22
	v_mul_f16_e32 v62, 0x394e, v20
	v_add_f16_e32 v35, v24, v23
	v_pk_add_f16 v23, v9, v2 neg_lo:[0,1] neg_hi:[0,1]
	v_pk_fma_f16 v53, 0x394ebb7b, v20, v32 op_sel:[0,0,1] op_sel_hi:[1,1,0] neg_lo:[0,1,0] neg_hi:[0,1,0]
	v_pk_fma_f16 v54, 0x394ebb7b, v20, v32 op_sel:[0,0,1] op_sel_hi:[1,1,0]
	v_fma_f16 v32, v31, 0xb9fd, -v62
	v_mul_f16_e32 v70, 0x3770, v75
	v_lshrrev_b32_e32 v76, 16, v23
	v_mul_f16_e32 v81, 0x3770, v20
	v_pk_add_f16 v24, v2, v9
	v_add_f16_e32 v30, v32, v30
	v_fmamk_f16 v36, v22, 0x3b15, v70
	v_mul_f16_e32 v52, 0xb94e, v76
	v_fma_f16 v40, v31, 0x3b15, -v81
	v_lshrrev_b32_e32 v32, 16, v24
	v_mul_f16_e32 v67, 0x3bf1, v23
	v_add_f16_e32 v25, v36, v25
	v_fmamk_f16 v36, v24, 0xb9fd, v52
	v_pk_mul_f16 v41, 0xb9fd2fb7, v24
	v_add_f16_e32 v40, v40, v26
	v_fma_f16 v26, v32, 0x2fb7, -v67
	v_mul_f16_e32 v69, 0xba95, v76
	v_add_f16_e32 v35, v36, v35
	v_pk_fma_f16 v57, 0x3bf1b94e, v23, v41 op_sel:[0,0,1] op_sel_hi:[1,1,0] neg_lo:[0,1,0] neg_hi:[0,1,0]
	v_pk_fma_f16 v58, 0x3bf1b94e, v23, v41 op_sel:[0,0,1] op_sel_hi:[1,1,0]
	v_add_f16_e32 v36, v26, v30
	v_pk_add_f16 v26, v6, v7 neg_lo:[0,1] neg_hi:[0,1]
	v_add_f16_e32 v41, v33, v21
	v_lshrrev_b32_e32 v42, 16, v34
	v_fmamk_f16 v30, v24, 0x388b, v69
	v_mul_f16_e32 v83, 0xba95, v23
	v_lshrrev_b32_e32 v79, 16, v26
	v_add_f16_e32 v41, v45, v41
	v_add_f16_e32 v42, v42, v4
	v_lshrrev_b32_e32 v47, 16, v46
	v_add_f16_e32 v25, v30, v25
	v_fma_f16 v61, v32, 0x388b, -v83
	v_pk_add_f16 v30, v7, v6
	v_mul_f16_e32 v59, 0xb3a8, v79
	v_add_f16_e32 v41, v48, v41
	v_add_f16_e32 v42, v47, v42
	v_lshrrev_b32_e32 v47, 16, v50
	v_add_f16_e32 v40, v61, v40
	v_fmamk_f16 v61, v30, 0xbbc4, v59
	v_pk_mul_f16 v63, 0xbbc43b15, v30
	v_add_f16_e32 v72, v53, v41
	v_add_f16_e32 v42, v47, v42
	v_lshrrev_b32_e32 v78, 16, v54
	v_add_f16_e32 v41, v61, v35
	v_pk_fma_f16 v61, 0x3770b3a8, v26, v63 op_sel:[0,0,1] op_sel_hi:[1,1,0] neg_lo:[0,1,0] neg_hi:[0,1,0]
	v_add_f16_e32 v35, v57, v72
	v_lshrrev_b32_e32 v47, 16, v30
	v_add_f16_e32 v42, v78, v42
	v_lshrrev_b32_e32 v72, 16, v58
	v_pk_fma_f16 v63, 0x3770b3a8, v26, v63 op_sel:[0,0,1] op_sel_hi:[1,1,0]
	v_mul_f16_e32 v78, 0x3770, v26
	v_mul_f16_e32 v80, 0xb94e, v79
	;; [unrolled: 1-line block ×3, first 2 shown]
	v_add_f16_e32 v72, v72, v42
	v_lshrrev_b32_e32 v84, 16, v63
	v_fma_f16 v85, v47, 0x3b15, -v78
	v_fmamk_f16 v86, v30, 0xb9fd, v80
	v_fma_f16 v87, v47, 0xb9fd, -v82
	v_add_f16_e32 v42, v61, v35
	v_add_f16_e32 v35, v84, v72
	;; [unrolled: 1-line block ×5, first 2 shown]
	v_mul_lo_u16 v40, v38, 13
	global_wb scope:SCOPE_SE
	s_barrier_signal -1
	s_barrier_wait -1
	global_inv scope:SCOPE_SE
	s_and_saveexec_b32 s0, vcc_lo
	s_cbranch_execz .LBB0_7
; %bb.6:
	v_mul_f16_e32 v84, 0xb94e, v13
	v_mul_f16_e32 v85, 0xb94e, v71
	;; [unrolled: 1-line block ×5, first 2 shown]
	v_fmamk_f16 v89, v27, 0xb9fd, v84
	v_fma_f16 v92, v15, 0xb9fd, -v85
	v_fmamk_f16 v93, v28, 0x2fb7, v86
	v_mul_f16_e32 v90, 0xba95, v73
	v_mul_f16_e32 v91, 0x33a8, v20
	v_add_f16_e32 v89, v89, v21
	v_fma_f16 v95, v17, 0x2fb7, -v87
	v_fmamk_f16 v96, v29, 0x388b, v88
	v_add_f16_e32 v92, v92, v4
	v_mul_f16_e32 v94, 0x33a8, v75
	v_add_f16_e32 v89, v93, v89
	v_mul_f16_e32 v93, 0x3770, v23
	v_fma_f16 v97, v19, 0x388b, -v90
	v_fmamk_f16 v98, v31, 0xbbc4, v91
	v_add_f16_e32 v92, v95, v92
	v_add_f16_e32 v89, v96, v89
	v_mul_f16_e32 v95, 0xbb7b, v13
	v_fma_f16 v96, v22, 0xbbc4, -v94
	v_fmamk_f16 v99, v32, 0x3b15, v93
	v_add_f16_e32 v92, v97, v92
	v_add_f16_e32 v89, v98, v89
	v_fmamk_f16 v97, v27, 0xb5ac, v95
	v_mul_f16_e32 v98, 0x394e, v14
	v_mul_f16_e32 v100, 0x3770, v76
	v_add_f16_e32 v92, v96, v92
	v_add_f16_e32 v89, v99, v89
	;; [unrolled: 1-line block ×3, first 2 shown]
	v_fmamk_f16 v97, v28, 0xb9fd, v98
	v_mul_f16_e32 v99, 0x3770, v18
	v_mul_f16_e32 v102, 0xbb7b, v26
	;; [unrolled: 1-line block ×3, first 2 shown]
	v_fma_f16 v101, v24, 0x3b15, -v100
	v_add_f16_e32 v96, v97, v96
	v_fmamk_f16 v97, v29, 0x3b15, v99
	v_mul_f16_e32 v103, 0xbb7b, v79
	v_fmamk_f16 v105, v47, 0xb5ac, v102
	v_add_f16_e32 v92, v101, v92
	v_mul_f16_e32 v71, 0xbb7b, v71
	v_add_f16_e32 v96, v97, v96
	v_fmamk_f16 v97, v31, 0x2fb7, v104
	v_fma_f16 v101, v30, 0xb5ac, -v103
	v_add_f16_e32 v89, v105, v89
	v_mul_f16_e32 v105, 0x33a8, v23
	v_fma_f16 v106, v15, 0xb5ac, -v71
	v_add_f16_e32 v96, v97, v96
	v_mul_f16_e32 v97, 0x2fb7, v27
	v_add_f16_e32 v92, v101, v92
	v_fmamk_f16 v101, v32, 0xbbc4, v105
	v_mul_f16_e32 v68, 0x394e, v68
	v_mul_f16_e32 v107, 0xbbc4, v28
	v_add_f16_e32 v65, v65, v97
	v_add_f16_e32 v97, v106, v4
	;; [unrolled: 1-line block ×3, first 2 shown]
	v_fma_f16 v101, v17, 0xb9fd, -v68
	v_add_f16_e32 v74, v74, v107
	v_add_f16_e32 v65, v65, v21
	v_mul_f16_e32 v73, 0x3770, v73
	v_mul_f16_e32 v106, 0xb5ac, v29
	v_mul_f16_e32 v107, 0x3a95, v26
	v_add_f16_e32 v97, v101, v97
	v_add_f16_e32 v65, v74, v65
	v_fma_f16 v74, v19, 0x3b15, -v73
	v_add_f16_e32 v77, v77, v106
	v_mul_f16_e32 v75, 0xbbf1, v75
	v_fmamk_f16 v101, v47, 0x388b, v107
	v_mul_f16_e32 v106, 0x3b15, v31
	v_add_f16_e32 v74, v74, v97
	v_add_f16_e32 v65, v77, v65
	v_fma_f16 v77, v22, 0x2fb7, -v75
	v_mul_f16_e32 v97, 0x2fb7, v15
	v_add_f16_e32 v81, v81, v106
	v_add_f16_e32 v96, v101, v96
	v_mul_f16_e32 v101, 0xbbc4, v17
	v_add_f16_e32 v74, v77, v74
	v_sub_f16_e32 v56, v97, v56
	v_mul_f16_e32 v77, 0x388b, v32
	v_add_f16_e32 v65, v81, v65
	v_sub_f16_e32 v64, v101, v64
	v_mul_f16_e32 v81, 0xb5ac, v19
	v_add_f16_e32 v56, v56, v4
	v_add_f16_e32 v77, v83, v77
	v_mul_f16_e32 v83, 0x388b, v27
	v_bfi_b32 v33, 0xffff, v34, v33
	v_fma_f16 v34, v27, 0xb9fd, -v84
	v_add_f16_e32 v56, v64, v56
	v_sub_f16_e32 v64, v81, v66
	v_mul_f16_e32 v66, 0xb5ac, v28
	v_add_f16_e32 v51, v51, v83
	v_add_f16_e32 v65, v77, v65
	v_mul_f16_e32 v77, 0x3b15, v22
	v_add_f16_e32 v56, v64, v56
	v_add_f16_e32 v55, v55, v66
	;; [unrolled: 1-line block ×3, first 2 shown]
	v_mul_f16_e32 v66, 0xbbc4, v29
	v_sub_f16_e32 v64, v77, v70
	v_mul_f16_e32 v77, 0x388b, v24
	v_fma_f16 v27, v27, 0xb5ac, -v95
	v_add_f16_e32 v51, v55, v51
	v_add_f16_e32 v55, v60, v66
	v_mul_f16_e32 v66, 0xb9fd, v31
	v_add_f16_e32 v56, v64, v56
	v_mul_f16_e32 v64, 0x2fb7, v32
	v_add_f16_e32 v34, v34, v21
	v_add_f16_e32 v51, v55, v51
	;; [unrolled: 1-line block ×3, first 2 shown]
	v_sub_f16_e32 v66, v77, v69
	v_add_f16_e32 v64, v67, v64
	v_mul_f16_e32 v67, 0x3b15, v47
	v_bfi_b32 v45, 0xffff, v46, v45
	v_add_f16_e32 v51, v62, v51
	v_add_f16_e32 v56, v66, v56
	v_mul_f16_e32 v62, 0xb9fd, v30
	v_add_f16_e32 v66, v78, v67
	v_alignbit_b32 v67, v4, v4, 16
	v_add_f16_e32 v51, v64, v51
	v_mul_f16_e32 v64, 0x3b15, v15
	v_sub_f16_e32 v62, v62, v80
	v_fmac_f16_e32 v85, 0xb9fd, v15
	v_pk_add_f16 v5, v5, v67 op_sel:[0,1] op_sel_hi:[1,0]
	v_add_f16_e32 v51, v66, v51
	v_sub_f16_e32 v39, v64, v39
	v_add_f16_e32 v56, v62, v56
	v_mul_f16_e32 v62, 0x388b, v17
	v_pk_add_f16 v5, v10, v5
	v_add_f16_e32 v10, v27, v21
	v_fma_f16 v21, v28, 0xb9fd, -v98
	v_mul_f16_e32 v64, 0x2fb7, v19
	v_sub_f16_e32 v43, v62, v43
	v_pk_add_f16 v5, v11, v5
	v_fma_f16 v11, v29, 0x3b15, -v99
	v_add_f16_e32 v10, v21, v10
	v_add_f16_e32 v39, v39, v4
	v_mul_f16_e32 v66, 0xb5ac, v22
	v_pk_add_f16 v5, v8, v5
	v_mul_f16_e32 v62, 0xb9fd, v24
	v_add_f16_e32 v10, v11, v10
	v_fma_f16 v11, v31, 0x2fb7, -v104
	v_add_f16_e32 v39, v43, v39
	v_pk_add_f16 v5, v9, v5
	v_sub_f16_e32 v43, v64, v44
	v_fma_f16 v44, v28, 0x2fb7, -v86
	v_add_f16_e32 v9, v11, v10
	v_pk_mul_f16 v10, 0x3b15, v17 op_sel_hi:[0,1]
	v_pk_add_f16 v5, v6, v5
	v_fma_f16 v6, v32, 0xbbc4, -v105
	v_add_f16_e32 v39, v43, v39
	v_sub_f16_e32 v43, v66, v49
	v_add_f16_e32 v34, v44, v34
	v_pk_add_f16 v5, v7, v5
	v_add_f16_e32 v6, v6, v9
	v_fma_f16 v7, v47, 0x388b, -v107
	v_fma_f16 v44, v29, 0x388b, -v88
	v_fmac_f16_e32 v71, 0xb5ac, v15
	v_pk_add_f16 v2, v2, v5
	v_and_b32_e32 v5, 0xffff, v40
	v_add_f16_e32 v6, v7, v6
	v_pk_mul_f16 v7, 0xbbc4, v15 op_sel_hi:[0,1]
	v_bfi_b32 v46, 0xffff, v50, v48
	v_pk_add_f16 v2, v3, v2
	v_lshlrev_b32_e32 v3, 2, v5
	v_pk_add_f16 v5, v33, v67
	v_pk_fma_f16 v9, 0xb3a8, v13, v7 op_sel:[0,0,1] op_sel_hi:[0,1,0] neg_lo:[0,1,0] neg_hi:[0,1,0]
	v_pk_mul_f16 v11, 0xb9fd, v19 op_sel_hi:[0,1]
	v_pk_add_f16 v0, v0, v2
	v_pk_fma_f16 v2, 0xb3a8, v13, v7 op_sel:[0,0,1] op_sel_hi:[0,1,0]
	v_pk_add_f16 v5, v45, v5
	v_pk_add_f16 v7, v9, v67
	v_pk_fma_f16 v9, 0x3770, v14, v10 op_sel:[0,0,1] op_sel_hi:[0,1,0] neg_lo:[0,1,0] neg_hi:[0,1,0]
	v_pk_fma_f16 v10, 0x3770, v14, v10 op_sel:[0,0,1] op_sel_hi:[0,1,0]
	v_pk_add_f16 v2, v2, v67
	v_mul_f16_e32 v69, 0xbbc4, v30
	v_add_f16_e32 v39, v43, v39
	v_sub_f16_e32 v43, v62, v52
	v_add_f16_e32 v34, v44, v34
	v_fma_f16 v44, v31, 0xbbc4, -v91
	v_add_f16_e32 v50, v85, v4
	v_fmac_f16_e32 v87, 0x2fb7, v17
	v_add_f16_e32 v4, v71, v4
	v_fmac_f16_e32 v68, 0xb9fd, v17
	v_bfi_b32 v48, 0xffff, v54, v53
	v_pk_add_f16 v5, v46, v5
	v_pk_add_f16 v7, v9, v7
	v_pk_fma_f16 v9, 0xb94e, v18, v11 op_sel:[0,0,1] op_sel_hi:[0,1,0] neg_lo:[0,1,0] neg_hi:[0,1,0]
	v_pk_mul_f16 v13, 0x388b, v22 op_sel_hi:[0,1]
	v_pk_add_f16 v2, v10, v2
	v_pk_fma_f16 v10, 0xb94e, v18, v11 op_sel:[0,0,1] op_sel_hi:[0,1,0]
	v_add_f16_e32 v39, v43, v39
	v_sub_f16_e32 v43, v69, v59
	v_add_f16_e32 v34, v44, v34
	v_fma_f16 v44, v32, 0x3b15, -v93
	v_add_f16_e32 v50, v87, v50
	v_fmac_f16_e32 v90, 0x388b, v19
	v_add_f16_e32 v4, v68, v4
	v_fmac_f16_e32 v73, 0x3b15, v19
	v_mul_f16_e32 v76, 0x33a8, v76
	v_bfi_b32 v49, 0xffff, v58, v57
	v_pk_add_f16 v5, v48, v5
	v_pk_add_f16 v7, v9, v7
	v_pk_fma_f16 v9, 0x3a95, v20, v13 op_sel:[0,0,1] op_sel_hi:[0,1,0] neg_lo:[0,1,0] neg_hi:[0,1,0]
	v_pk_mul_f16 v11, 0xb5ac, v24 op_sel_hi:[0,1]
	v_pk_add_f16 v2, v10, v2
	v_pk_fma_f16 v10, 0x3a95, v20, v13 op_sel:[0,0,1] op_sel_hi:[0,1,0]
	v_add_f16_e32 v39, v43, v39
	v_add_f16_e32 v34, v44, v34
	v_fma_f16 v43, v47, 0xb5ac, -v102
	v_add_f16_e32 v44, v90, v50
	v_fmac_f16_e32 v94, 0xbbc4, v22
	v_add_f16_e32 v4, v73, v4
	v_fmac_f16_e32 v75, 0x2fb7, v22
	v_fma_f16 v97, v24, 0xbbc4, -v76
	v_mul_f16_e32 v70, 0xb9fd, v47
	v_mul_f16_e32 v60, 0x3a95, v79
	v_bfi_b32 v52, 0xffff, v63, v61
	v_pk_add_f16 v5, v49, v5
	v_pk_add_f16 v7, v9, v7
	v_pk_fma_f16 v9, 0xbb7b, v23, v11 op_sel:[0,0,1] op_sel_hi:[0,1,0] neg_lo:[0,1,0] neg_hi:[0,1,0]
	v_pk_mul_f16 v13, 0x2fb7, v30 op_sel_hi:[0,1]
	v_pk_add_f16 v2, v10, v2
	v_pk_fma_f16 v10, 0xbb7b, v23, v11 op_sel:[0,0,1] op_sel_hi:[0,1,0]
	v_add_f16_e32 v34, v43, v34
	v_add_f16_e32 v43, v94, v44
	v_fmac_f16_e32 v100, 0x3b15, v24
	v_add_f16_e32 v4, v75, v4
	v_fmac_f16_e32 v76, 0xbbc4, v24
	v_add_f16_e32 v74, v97, v74
	v_add_f16_e32 v70, v82, v70
	v_fma_f16 v55, v30, 0x388b, -v60
	v_pk_add_f16 v0, v1, v0
	v_pk_add_f16 v1, v52, v5
	;; [unrolled: 1-line block ×3, first 2 shown]
	v_pk_fma_f16 v7, 0x3bf1, v26, v13 op_sel:[0,0,1] op_sel_hi:[0,1,0] neg_lo:[0,1,0] neg_hi:[0,1,0]
	v_pk_add_f16 v2, v10, v2
	v_pk_fma_f16 v9, 0x3bf1, v26, v13 op_sel:[0,0,1] op_sel_hi:[0,1,0]
	v_add_f16_e32 v8, v100, v43
	v_fmac_f16_e32 v103, 0xb5ac, v30
	v_add_f16_e32 v4, v76, v4
	v_fmac_f16_e32 v60, 0x388b, v30
	v_add_f16_e32 v55, v55, v74
	v_add_f16_e32 v65, v70, v65
	v_pk_add_f16 v0, v12, v0
	v_pack_b32_f16 v11, v92, v89
	v_pk_add_f16 v5, v7, v5
	v_pk_add_f16 v2, v9, v2
	v_add_f16_e32 v8, v103, v8
	v_add_f16_e32 v4, v60, v4
	v_alignbit_b32 v10, v51, v1, 16
	v_pack_b32_f16 v1, v39, v1
	v_pack_b32_f16 v7, v56, v65
	;; [unrolled: 1-line block ×3, first 2 shown]
	ds_store_2addr_b32 v3, v0, v11 offset1:5
	v_alignbit_b32 v0, v5, v2, 16
	v_alignbit_b32 v2, v2, v5, 16
	v_pack_b32_f16 v4, v4, v6
	v_pack_b32_f16 v5, v8, v34
	v_perm_b32 v6, v36, v35, 0x5040100
	v_perm_b32 v8, v72, v25, 0x5040100
	;; [unrolled: 1-line block ×3, first 2 shown]
	ds_store_2addr_b32 v3, v1, v10 offset0:1 offset1:2
	ds_store_2addr_b32 v3, v7, v9 offset0:3 offset1:4
	;; [unrolled: 1-line block ×5, first 2 shown]
	ds_store_b32 v3, v11 offset:48
.LBB0_7:
	s_wait_alu 0xfffe
	s_or_b32 exec_lo, exec_lo, s0
	v_and_b32_e32 v8, 0xff, v38
	v_add_co_u32 v17, s0, 0xc3, v38
	s_load_b128 s[4:7], s[4:5], 0x0
	global_wb scope:SCOPE_SE
	s_wait_dscnt 0x0
	v_mul_lo_u16 v0, 0x4f, v8
	s_wait_kmcnt 0x0
	s_barrier_signal -1
	s_barrier_wait -1
	global_inv scope:SCOPE_SE
	v_and_b32_e32 v9, 0xffff, v38
	v_lshrrev_b16 v21, 10, v0
	v_and_b32_e32 v0, 0xffff, v17
	v_mul_lo_u16 v10, 0xfd, v8
	v_add_co_ci_u32_e64 v18, null, 0, 0, s0
	s_delay_alu instid0(VALU_DEP_4) | instskip(NEXT) | instid1(VALU_DEP_4)
	v_mul_lo_u16 v1, v21, 13
	v_mul_u32_u24_e32 v0, 0x4ec5, v0
	v_lshlrev_b32_e32 v39, 2, v9
	v_lshrrev_b16 v30, 14, v10
	v_and_b32_e32 v21, 0xffff, v21
	v_sub_nc_u16 v1, v38, v1
	v_lshrrev_b32_e32 v22, 18, v0
	v_add_nc_u32_e32 v26, 0x600, v39
	v_add_nc_u32_e32 v27, 0xc00, v39
	;; [unrolled: 1-line block ×3, first 2 shown]
	v_and_b32_e32 v23, 0xff, v1
	v_mul_lo_u16 v0, v22, 13
	v_add_nc_u32_e32 v29, 0x1800, v39
	ds_load_2addr_b32 v[8:9], v39 offset1:195
	v_mul_u32_u24_e32 v21, 0x41, v21
	v_lshlrev_b32_e32 v1, 4, v23
	v_sub_nc_u16 v24, v17, v0
	v_mul_lo_u16 v31, 0x41, v30
	v_cmp_gt_u16_e64 s0, 0x41, v38
	v_add_lshl_u32 v43, v21, v23, 2
	global_load_b128 v[4:7], v1, s[2:3]
	v_lshlrev_b16 v0, 2, v24
	v_mad_u16 v23, 0x41, v22, v24
	v_sub_nc_u16 v31, v38, v31
	s_delay_alu instid0(VALU_DEP_3) | instskip(NEXT) | instid1(VALU_DEP_3)
	v_and_b32_e32 v0, 0xffff, v0
	v_and_b32_e32 v23, 0xffff, v23
	s_delay_alu instid0(VALU_DEP_3) | instskip(NEXT) | instid1(VALU_DEP_3)
	v_and_b32_e32 v31, 0xff, v31
	v_lshlrev_b32_e32 v0, 2, v0
	s_delay_alu instid0(VALU_DEP_3)
	v_lshlrev_b32_e32 v44, 2, v23
	s_wait_dscnt 0x0
	v_lshrrev_b32_e32 v32, 16, v8
	v_lshrrev_b32_e32 v33, 16, v9
	v_mad_co_u64_u32 v[21:22], null, v31, 36, s[2:3]
	global_load_b128 v[0:3], v0, s[2:3]
	ds_load_2addr_b32 v[10:11], v26 offset0:6 offset1:201
	ds_load_2addr_b32 v[12:13], v27 offset0:12 offset1:207
	;; [unrolled: 1-line block ×4, first 2 shown]
	global_wb scope:SCOPE_SE
	s_wait_loadcnt_dscnt 0x0
	s_barrier_signal -1
	s_barrier_wait -1
	global_inv scope:SCOPE_SE
	v_lshrrev_b32_e32 v24, 16, v10
	v_lshrrev_b32_e32 v34, 16, v12
	;; [unrolled: 1-line block ×12, first 2 shown]
	s_delay_alu instid0(VALU_DEP_4)
	v_mul_f16_e32 v23, v24, v54
	v_mul_f16_e32 v59, v10, v54
	;; [unrolled: 1-line block ×8, first 2 shown]
	v_fma_f16 v10, v10, v4, -v23
	v_fmac_f16_e32 v59, v24, v4
	v_fma_f16 v12, v12, v5, -v49
	v_fmac_f16_e32 v60, v34, v5
	;; [unrolled: 2-line block ×3, first 2 shown]
	v_fma_f16 v19, v19, v7, -v53
	v_lshrrev_b32_e32 v56, 16, v0
	v_fmac_f16_e32 v62, v46, v7
	v_lshrrev_b32_e32 v53, 16, v1
	v_lshrrev_b32_e32 v50, 16, v2
	;; [unrolled: 1-line block ×3, first 2 shown]
	v_mul_f16_e32 v23, v47, v56
	v_mul_f16_e32 v24, v11, v56
	v_mul_f16_e32 v34, v48, v53
	v_mul_f16_e32 v45, v13, v53
	v_mul_f16_e32 v46, v57, v50
	v_mul_f16_e32 v63, v15, v50
	v_add_f16_e32 v67, v12, v14
	v_add_f16_e32 v73, v10, v19
	;; [unrolled: 1-line block ×5, first 2 shown]
	v_mul_f16_e32 v64, v58, v49
	v_mul_f16_e32 v65, v20, v49
	v_add_f16_e32 v66, v8, v10
	v_sub_f16_e32 v68, v59, v62
	v_sub_f16_e32 v69, v60, v61
	;; [unrolled: 1-line block ×7, first 2 shown]
	v_fma_f16 v11, v11, v0, -v23
	v_fmac_f16_e32 v24, v47, v0
	v_fma_f16 v13, v13, v1, -v34
	v_fmac_f16_e32 v45, v48, v1
	;; [unrolled: 2-line block ×3, first 2 shown]
	v_fma_f16 v23, -0.5, v67, v8
	v_fma_f16 v8, -0.5, v73, v8
	v_add_f16_e32 v47, v76, v60
	v_fma_f16 v48, -0.5, v77, v32
	v_fmac_f16_e32 v32, -0.5, v81
	v_sub_f16_e32 v70, v10, v12
	v_sub_f16_e32 v74, v12, v10
	;; [unrolled: 1-line block ×4, first 2 shown]
	v_fma_f16 v20, v20, v3, -v64
	v_fmac_f16_e32 v65, v58, v3
	v_add_f16_e32 v12, v66, v12
	v_sub_f16_e32 v71, v19, v14
	v_add_f16_e32 v57, v79, v80
	v_add_f16_e32 v58, v59, v82
	v_fmamk_f16 v59, v69, 0xbb9c, v8
	v_fmac_f16_e32 v8, 0x3b9c, v69
	v_add_f16_e32 v47, v47, v61
	v_fmamk_f16 v61, v78, 0x3b9c, v32
	v_fmac_f16_e32 v32, 0xbb9c, v78
	v_add_f16_e32 v64, v9, v11
	v_add_f16_e32 v66, v13, v15
	;; [unrolled: 1-line block ×5, first 2 shown]
	v_fmamk_f16 v14, v68, 0x3b9c, v23
	v_fmac_f16_e32 v23, 0xbb9c, v68
	v_fmamk_f16 v60, v10, 0xbb9c, v48
	v_fmac_f16_e32 v48, 0x3b9c, v10
	v_add_f16_e32 v74, v11, v20
	v_add_f16_e32 v83, v24, v65
	;; [unrolled: 1-line block ×3, first 2 shown]
	v_sub_f16_e32 v67, v24, v65
	v_sub_f16_e32 v71, v11, v13
	;; [unrolled: 1-line block ×3, first 2 shown]
	v_add_f16_e32 v77, v33, v24
	v_sub_f16_e32 v11, v11, v20
	v_sub_f16_e32 v80, v13, v15
	v_fmac_f16_e32 v59, 0x38b4, v68
	v_fmac_f16_e32 v8, 0xb8b4, v68
	v_fmac_f16_e32 v61, 0xb8b4, v10
	v_fmac_f16_e32 v32, 0x38b4, v10
	v_add_f16_e32 v10, v64, v13
	v_fma_f16 v13, -0.5, v66, v9
	v_fma_f16 v64, -0.5, v79, v33
	v_sub_f16_e32 v70, v45, v63
	v_fmac_f16_e32 v14, 0x38b4, v69
	v_fmac_f16_e32 v23, 0xb8b4, v69
	;; [unrolled: 1-line block ×4, first 2 shown]
	v_fmac_f16_e32 v9, -0.5, v74
	v_fmac_f16_e32 v33, -0.5, v83
	v_sub_f16_e32 v73, v20, v15
	v_sub_f16_e32 v76, v15, v20
	;; [unrolled: 1-line block ×5, first 2 shown]
	v_add_f16_e32 v45, v77, v45
	v_fmac_f16_e32 v59, 0x34f2, v46
	v_fmac_f16_e32 v8, 0x34f2, v46
	v_add_f16_e32 v10, v10, v15
	v_fmamk_f16 v15, v67, 0x3b9c, v13
	v_fmamk_f16 v46, v11, 0xbb9c, v64
	v_sub_f16_e32 v84, v63, v65
	v_fmac_f16_e32 v14, 0x34f2, v34
	v_fmac_f16_e32 v23, 0x34f2, v34
	;; [unrolled: 1-line block ×4, first 2 shown]
	v_fmamk_f16 v34, v70, 0xbb9c, v9
	v_fmac_f16_e32 v9, 0x3b9c, v70
	v_fmamk_f16 v57, v80, 0x3b9c, v33
	v_fmac_f16_e32 v33, 0xbb9c, v80
	v_fmac_f16_e32 v13, 0xbb9c, v67
	;; [unrolled: 1-line block ×3, first 2 shown]
	v_add_f16_e32 v12, v12, v19
	v_add_f16_e32 v19, v47, v62
	;; [unrolled: 1-line block ×5, first 2 shown]
	v_fmac_f16_e32 v15, 0x38b4, v70
	v_fmac_f16_e32 v46, 0xb8b4, v80
	v_add_f16_e32 v62, v75, v76
	v_add_f16_e32 v24, v24, v84
	v_fmac_f16_e32 v34, 0x38b4, v67
	v_fmac_f16_e32 v9, 0xb8b4, v67
	;; [unrolled: 1-line block ×8, first 2 shown]
	v_pack_b32_f16 v12, v12, v19
	v_add_f16_e32 v10, v10, v20
	v_add_f16_e32 v19, v45, v65
	v_pack_b32_f16 v11, v14, v60
	v_fmac_f16_e32 v15, 0x34f2, v47
	v_fmac_f16_e32 v46, 0x34f2, v66
	v_fmac_f16_e32 v34, 0x34f2, v62
	v_fmac_f16_e32 v9, 0x34f2, v62
	v_fmac_f16_e32 v57, 0x34f2, v24
	v_fmac_f16_e32 v33, 0x34f2, v24
	v_fmac_f16_e32 v13, 0x34f2, v47
	v_fmac_f16_e32 v64, 0x34f2, v66
	v_pack_b32_f16 v14, v59, v61
	v_pack_b32_f16 v8, v8, v32
	v_pack_b32_f16 v20, v23, v48
	ds_store_2addr_b32 v43, v12, v11 offset1:13
	v_pack_b32_f16 v10, v10, v19
	v_pack_b32_f16 v11, v15, v46
	;; [unrolled: 1-line block ×5, first 2 shown]
	ds_store_2addr_b32 v43, v14, v8 offset0:26 offset1:39
	ds_store_b32 v43, v20 offset:208
	ds_store_2addr_b32 v44, v10, v11 offset1:13
	ds_store_2addr_b32 v44, v12, v9 offset0:26 offset1:39
	ds_store_b32 v44, v13 offset:208
	global_wb scope:SCOPE_SE
	s_wait_dscnt 0x0
	s_barrier_signal -1
	s_barrier_wait -1
	global_inv scope:SCOPE_SE
	s_clause 0x2
	global_load_b128 v[12:15], v[21:22], off offset:208
	global_load_b128 v[8:11], v[21:22], off offset:224
	global_load_b32 v46, v[21:22], off offset:240
	v_and_b32_e32 v23, 0xffff, v30
	ds_load_2addr_b32 v[19:20], v39 offset1:195
	ds_load_2addr_b32 v[21:22], v26 offset0:6 offset1:201
	v_add_nc_u32_e32 v73, 0xa00, v39
	v_add_nc_u32_e32 v74, 0x1400, v39
	v_mul_u32_u24_e32 v30, 0x28a, v23
	ds_load_2addr_b32 v[23:24], v27 offset0:12 offset1:207
	ds_load_2addr_b32 v[26:27], v28 offset0:18 offset1:213
	;; [unrolled: 1-line block ×3, first 2 shown]
	global_wb scope:SCOPE_SE
	s_wait_loadcnt_dscnt 0x0
	s_barrier_signal -1
	s_barrier_wait -1
	v_add_lshl_u32 v45, v30, v31, 2
	global_inv scope:SCOPE_SE
	v_add_nc_u32_e32 v30, 0x400, v45
	v_add_nc_u32_e32 v31, 0x800, v45
	v_lshrrev_b32_e32 v33, 16, v20
	v_lshrrev_b32_e32 v34, 16, v21
	v_lshrrev_b32_e32 v47, 16, v22
	v_lshrrev_b32_e32 v32, 16, v19
	v_lshrrev_b32_e32 v48, 16, v23
	v_lshrrev_b32_e32 v57, 16, v24
	v_lshrrev_b32_e32 v58, 16, v26
	v_lshrrev_b32_e32 v59, 16, v27
	v_lshrrev_b32_e32 v60, 16, v28
	v_lshrrev_b32_e32 v61, 16, v29
	v_lshrrev_b32_e32 v71, 16, v12
	v_lshrrev_b32_e32 v70, 16, v13
	v_lshrrev_b32_e32 v69, 16, v14
	v_lshrrev_b32_e32 v68, 16, v15
	v_lshrrev_b32_e32 v67, 16, v8
	v_lshrrev_b32_e32 v66, 16, v9
	v_lshrrev_b32_e32 v65, 16, v10
	v_lshrrev_b32_e32 v64, 16, v11
	v_lshrrev_b32_e32 v63, 16, v46
	v_mul_f16_e32 v62, v33, v71
	v_mul_f16_e32 v75, v20, v71
	;; [unrolled: 1-line block ×18, first 2 shown]
	v_fma_f16 v20, v20, v12, -v62
	v_fmac_f16_e32 v75, v33, v12
	v_fma_f16 v21, v21, v13, -v76
	v_fmac_f16_e32 v77, v34, v13
	;; [unrolled: 2-line block ×9, first 2 shown]
	v_add_f16_e32 v33, v19, v21
	v_add_f16_e32 v34, v23, v26
	v_sub_f16_e32 v57, v21, v23
	v_sub_f16_e32 v58, v28, v26
	;; [unrolled: 1-line block ×4, first 2 shown]
	v_add_f16_e32 v62, v32, v77
	v_sub_f16_e32 v80, v77, v81
	v_sub_f16_e32 v82, v89, v85
	v_add_f16_e32 v88, v20, v22
	v_add_f16_e32 v90, v24, v27
	;; [unrolled: 1-line block ×6, first 2 shown]
	v_sub_f16_e32 v47, v77, v89
	v_sub_f16_e32 v48, v81, v85
	v_add_f16_e32 v59, v21, v28
	v_add_f16_e32 v76, v81, v85
	v_sub_f16_e32 v78, v23, v26
	v_add_f16_e32 v84, v77, v89
	v_sub_f16_e32 v77, v81, v77
	v_sub_f16_e32 v92, v79, v91
	;; [unrolled: 1-line block ×6, first 2 shown]
	v_add_f16_e32 v23, v33, v23
	v_fma_f16 v33, -0.5, v34, v19
	v_add_f16_e32 v34, v57, v58
	v_add_f16_e32 v57, v60, v61
	;; [unrolled: 1-line block ×5, first 2 shown]
	v_fma_f16 v62, -0.5, v90, v20
	v_add_f16_e32 v80, v99, v83
	v_fma_f16 v81, -0.5, v100, v75
	v_sub_f16_e32 v86, v85, v89
	v_sub_f16_e32 v93, v83, v87
	v_fmac_f16_e32 v20, -0.5, v96
	v_fmac_f16_e32 v75, -0.5, v104
	v_sub_f16_e32 v95, v29, v27
	v_sub_f16_e32 v98, v27, v29
	;; [unrolled: 1-line block ×5, first 2 shown]
	v_fmac_f16_e32 v19, -0.5, v59
	v_fma_f16 v59, -0.5, v76, v32
	v_fmac_f16_e32 v32, -0.5, v84
	v_add_f16_e32 v24, v24, v27
	v_fmamk_f16 v27, v92, 0x3b9c, v62
	v_add_f16_e32 v80, v80, v87
	v_fmamk_f16 v87, v22, 0xbb9c, v81
	v_sub_f16_e32 v79, v83, v79
	v_add_f16_e32 v61, v77, v86
	v_fmamk_f16 v86, v93, 0xbb9c, v20
	v_fmac_f16_e32 v20, 0x3b9c, v93
	v_fmamk_f16 v88, v101, 0x3b9c, v75
	v_fmac_f16_e32 v75, 0xbb9c, v101
	v_sub_f16_e32 v21, v21, v28
	v_fmac_f16_e32 v62, 0xbb9c, v92
	v_fmac_f16_e32 v81, 0x3b9c, v22
	v_add_f16_e32 v76, v94, v95
	v_add_f16_e32 v82, v102, v103
	;; [unrolled: 1-line block ×4, first 2 shown]
	v_fmamk_f16 v85, v78, 0x3b9c, v32
	v_fmac_f16_e32 v32, 0xbb9c, v78
	v_fmac_f16_e32 v27, 0x38b4, v93
	;; [unrolled: 1-line block ×3, first 2 shown]
	v_add_f16_e32 v77, v97, v98
	v_add_f16_e32 v79, v79, v105
	v_fmamk_f16 v26, v47, 0x3b9c, v33
	v_fmac_f16_e32 v33, 0xbb9c, v47
	v_fmamk_f16 v83, v48, 0xbb9c, v19
	v_fmac_f16_e32 v19, 0x3b9c, v48
	v_fmac_f16_e32 v86, 0x38b4, v92
	;; [unrolled: 1-line block ×5, first 2 shown]
	v_fmamk_f16 v84, v21, 0xbb9c, v59
	v_fmac_f16_e32 v59, 0x3b9c, v21
	v_fmac_f16_e32 v62, 0xb8b4, v93
	;; [unrolled: 1-line block ×3, first 2 shown]
	v_add_f16_e32 v23, v23, v28
	v_add_f16_e32 v28, v58, v89
	v_fmac_f16_e32 v85, 0xb8b4, v21
	v_fmac_f16_e32 v32, 0x38b4, v21
	v_add_f16_e32 v21, v24, v29
	v_add_f16_e32 v24, v80, v91
	v_fmac_f16_e32 v27, 0x34f2, v76
	v_fmac_f16_e32 v87, 0x34f2, v82
	;; [unrolled: 1-line block ×14, first 2 shown]
	v_add_f16_e32 v22, v23, v21
	v_add_f16_e32 v29, v28, v24
	v_sub_f16_e32 v21, v23, v21
	v_sub_f16_e32 v23, v28, v24
	v_mul_f16_e32 v24, 0x38b4, v87
	v_mul_f16_e32 v48, 0xb8b4, v27
	v_fmac_f16_e32 v26, 0x34f2, v34
	v_fmac_f16_e32 v33, 0x34f2, v34
	;; [unrolled: 1-line block ×4, first 2 shown]
	v_mul_f16_e32 v28, 0x3b9c, v88
	v_mul_f16_e32 v34, 0x34f2, v20
	;; [unrolled: 1-line block ×4, first 2 shown]
	v_fmac_f16_e32 v84, 0x34f2, v60
	v_fmac_f16_e32 v59, 0x34f2, v60
	v_mul_f16_e32 v47, 0x3a79, v62
	v_mul_f16_e32 v60, 0x3a79, v81
	v_fmac_f16_e32 v24, 0x3a79, v27
	v_fmac_f16_e32 v48, 0x3a79, v87
	;; [unrolled: 1-line block ×4, first 2 shown]
	v_pack_b32_f16 v21, v21, v23
	v_fmac_f16_e32 v28, 0x34f2, v86
	v_fma_f16 v23, v75, 0x3b9c, -v34
	v_fmac_f16_e32 v57, 0x34f2, v88
	v_fma_f16 v20, v20, 0xbb9c, -v58
	v_pack_b32_f16 v22, v22, v29
	v_fma_f16 v27, v81, 0x38b4, -v47
	v_fma_f16 v29, v62, 0xb8b4, -v60
	v_add_f16_e32 v34, v26, v24
	v_add_f16_e32 v61, v84, v48
	;; [unrolled: 1-line block ×8, first 2 shown]
	v_sub_f16_e32 v24, v26, v24
	v_sub_f16_e32 v28, v83, v28
	;; [unrolled: 1-line block ×8, first 2 shown]
	v_pack_b32_f16 v29, v34, v61
	v_pack_b32_f16 v32, v47, v62
	;; [unrolled: 1-line block ×8, first 2 shown]
	ds_store_2addr_b32 v45, v22, v29 offset1:65
	ds_store_2addr_b32 v45, v32, v33 offset0:130 offset1:195
	ds_store_2addr_b32 v30, v34, v21 offset0:4 offset1:69
	;; [unrolled: 1-line block ×4, first 2 shown]
	global_wb scope:SCOPE_SE
	s_wait_dscnt 0x0
	s_barrier_signal -1
	s_barrier_wait -1
	global_inv scope:SCOPE_SE
	ds_load_2addr_b32 v[31:32], v39 offset1:195
	ds_load_2addr_b32 v[33:34], v73 offset0:10 offset1:205
	ds_load_2addr_b32 v[28:29], v74 offset0:20 offset1:215
	ds_load_b32 v27, v39 offset:1560
	ds_load_b32 v47, v39 offset:4160
	;; [unrolled: 1-line block ×3, first 2 shown]
	s_and_saveexec_b32 s1, s0
	s_cbranch_execz .LBB0_9
; %bb.8:
	ds_load_b32 v26, v39 offset:2340
	ds_load_b32 v25, v39 offset:4940
	;; [unrolled: 1-line block ×3, first 2 shown]
	s_wait_dscnt 0x2
	v_lshrrev_b32_e32 v76, 16, v26
	s_wait_dscnt 0x1
	v_lshrrev_b32_e32 v72, 16, v25
	;; [unrolled: 2-line block ×3, first 2 shown]
.LBB0_9:
	s_wait_alu 0xfffe
	s_or_b32 exec_lo, exec_lo, s1
	v_lshlrev_b64_e32 v[17:18], 3, v[17:18]
	v_lshlrev_b32_e32 v19, 3, v38
	s_wait_dscnt 0x3
	v_lshrrev_b32_e32 v75, 16, v28
	v_lshrrev_b32_e32 v77, 16, v34
	;; [unrolled: 1-line block ×3, first 2 shown]
	s_wait_dscnt 0x1
	v_lshrrev_b32_e32 v82, 16, v47
	v_add_co_u32 v17, s1, s2, v17
	s_wait_alu 0xf1ff
	v_add_co_ci_u32_e64 v18, s1, s3, v18, s1
	global_load_b64 v[21:22], v19, s[2:3] offset:2548
	v_lshrrev_b32_e32 v80, 16, v31
	s_wait_dscnt 0x0
	v_lshrrev_b32_e32 v83, 16, v30
	global_load_b64 v[23:24], v[17:18], off offset:2548
	v_add_co_u32 v17, s1, 0x249, v38
	s_wait_alu 0xf1ff
	v_add_co_ci_u32_e64 v18, null, 0, 0, s1
	v_add_co_u32 v48, s1, 0xffffffbf, v38
	s_wait_alu 0xf1ff
	v_add_co_ci_u32_e64 v57, null, 0, -1, s1
	v_add_nc_u32_e32 v19, 0xc30, v19
	s_delay_alu instid0(VALU_DEP_3) | instskip(SKIP_1) | instid1(VALU_DEP_4)
	v_cndmask_b32_e64 v17, v48, v17, s0
	v_lshrrev_b32_e32 v48, 16, v33
	v_cndmask_b32_e64 v18, v57, v18, s0
	v_lshrrev_b32_e32 v79, 16, v32
	global_load_b64 v[19:20], v19, s[2:3] offset:2548
	v_lshrrev_b32_e32 v78, 16, v27
	v_lshlrev_b64_e32 v[17:18], 3, v[17:18]
	s_delay_alu instid0(VALU_DEP_1) | instskip(SKIP_1) | instid1(VALU_DEP_2)
	v_add_co_u32 v17, s1, s2, v17
	s_wait_alu 0xf1ff
	v_add_co_ci_u32_e64 v18, s1, s3, v18, s1
	global_load_b64 v[17:18], v[17:18], off offset:2548
	s_wait_loadcnt 0x3
	v_lshrrev_b32_e32 v62, 16, v21
	v_lshrrev_b32_e32 v60, 16, v22
	s_wait_loadcnt 0x2
	v_lshrrev_b32_e32 v61, 16, v23
	v_lshrrev_b32_e32 v59, 16, v24
	v_mul_f16_e32 v84, v48, v62
	v_mul_f16_e32 v85, v33, v62
	;; [unrolled: 1-line block ×4, first 2 shown]
	s_delay_alu instid0(VALU_DEP_4) | instskip(NEXT) | instid1(VALU_DEP_4)
	v_fma_f16 v33, v33, v21, -v84
	v_fmac_f16_e32 v85, v48, v21
	s_delay_alu instid0(VALU_DEP_4)
	v_fma_f16 v28, v28, v22, -v86
	v_mul_f16_e32 v48, v77, v61
	v_mul_f16_e32 v84, v81, v59
	;; [unrolled: 1-line block ×3, first 2 shown]
	v_fmac_f16_e32 v87, v75, v22
	s_wait_loadcnt 0x1
	v_lshrrev_b32_e32 v58, 16, v19
	v_lshrrev_b32_e32 v57, 16, v20
	v_mul_f16_e32 v75, v34, v61
	v_add_f16_e32 v92, v31, v33
	v_add_f16_e32 v93, v33, v28
	v_mul_f16_e32 v88, v82, v58
	v_mul_f16_e32 v89, v47, v58
	v_mul_f16_e32 v91, v30, v57
	v_add_f16_e32 v95, v80, v85
	v_fma_f16 v34, v34, v23, -v48
	v_fma_f16 v84, v29, v24, -v84
	v_fmac_f16_e32 v86, v81, v24
	v_fma_f16 v81, v47, v19, -v88
	v_mul_f16_e32 v90, v83, v57
	v_sub_f16_e32 v94, v85, v87
	v_add_f16_e32 v85, v85, v87
	s_wait_loadcnt 0x0
	v_lshrrev_b32_e32 v48, 16, v17
	v_lshrrev_b32_e32 v47, 16, v18
	v_sub_f16_e32 v96, v33, v28
	v_fmac_f16_e32 v75, v77, v23
	v_fmac_f16_e32 v89, v82, v19
	;; [unrolled: 1-line block ×3, first 2 shown]
	v_add_f16_e32 v29, v92, v28
	v_fma_f16 v33, -0.5, v93, v31
	v_add_f16_e32 v77, v95, v87
	v_mul_f16_e32 v28, v72, v48
	v_mul_f16_e32 v83, v25, v48
	;; [unrolled: 1-line block ×4, first 2 shown]
	v_add_f16_e32 v87, v34, v84
	v_fma_f16 v82, v30, v20, -v90
	v_fmac_f16_e32 v80, -0.5, v85
	v_add_f16_e32 v85, v32, v34
	v_sub_f16_e32 v90, v75, v86
	v_add_f16_e32 v92, v79, v75
	v_add_f16_e32 v75, v75, v86
	v_sub_f16_e32 v98, v89, v91
	v_add_f16_e32 v99, v78, v89
	v_add_f16_e32 v89, v89, v91
	v_fma_f16 v25, v25, v17, -v28
	v_fmac_f16_e32 v83, v72, v17
	v_fma_f16 v28, v35, v18, -v31
	v_fmac_f16_e32 v88, v36, v18
	v_fmac_f16_e32 v32, -0.5, v87
	v_add_f16_e32 v97, v81, v82
	v_sub_f16_e32 v93, v34, v84
	v_add_f16_e32 v95, v27, v81
	v_add_f16_e32 v34, v85, v84
	;; [unrolled: 1-line block ×3, first 2 shown]
	v_fmac_f16_e32 v79, -0.5, v75
	v_add_f16_e32 v85, v99, v91
	v_fmac_f16_e32 v78, -0.5, v89
	v_fmamk_f16 v31, v90, 0x3aee, v32
	v_fmac_f16_e32 v32, 0xbaee, v90
	v_add_f16_e32 v89, v25, v28
	v_sub_f16_e32 v90, v83, v88
	v_add_f16_e32 v91, v76, v83
	v_add_f16_e32 v83, v83, v88
	v_sub_f16_e32 v100, v81, v82
	v_fmac_f16_e32 v27, -0.5, v97
	v_fmamk_f16 v30, v94, 0x3aee, v33
	v_fmac_f16_e32 v33, 0xbaee, v94
	v_fmamk_f16 v81, v96, 0xbaee, v80
	v_pack_b32_f16 v94, v29, v77
	v_add_f16_e32 v35, v95, v82
	v_fmamk_f16 v87, v93, 0xbaee, v79
	v_add_f16_e32 v82, v26, v25
	v_sub_f16_e32 v92, v25, v28
	v_pack_b32_f16 v25, v34, v86
	v_fmac_f16_e32 v26, -0.5, v89
	v_fmac_f16_e32 v76, -0.5, v83
	v_fmac_f16_e32 v80, 0x3aee, v96
	v_fmac_f16_e32 v79, 0x3aee, v93
	v_fmamk_f16 v36, v98, 0x3aee, v27
	v_fmamk_f16 v84, v100, 0xbaee, v78
	v_fmac_f16_e32 v27, 0xbaee, v98
	v_fmac_f16_e32 v78, 0x3aee, v100
	v_pack_b32_f16 v72, v30, v81
	v_add_f16_e32 v28, v82, v28
	v_add_f16_e32 v82, v91, v88
	ds_store_2addr_b32 v39, v94, v25 offset1:195
	v_pack_b32_f16 v88, v31, v87
	v_fmamk_f16 v25, v90, 0x3aee, v26
	v_fmac_f16_e32 v26, 0xbaee, v90
	v_fmamk_f16 v83, v92, 0xbaee, v76
	v_fmac_f16_e32 v76, 0x3aee, v92
	v_pack_b32_f16 v75, v33, v80
	v_pack_b32_f16 v89, v32, v79
	;; [unrolled: 1-line block ×5, first 2 shown]
	ds_store_2addr_b32 v73, v72, v88 offset0:10 offset1:205
	ds_store_2addr_b32 v74, v75, v89 offset0:20 offset1:215
	ds_store_b32 v39, v93 offset:1560
	ds_store_b32 v39, v91 offset:4160
	;; [unrolled: 1-line block ×3, first 2 shown]
	s_and_saveexec_b32 s1, s0
	s_cbranch_execz .LBB0_11
; %bb.10:
	v_perm_b32 v72, v82, v28, 0x5040100
	v_perm_b32 v73, v83, v25, 0x5040100
	;; [unrolled: 1-line block ×3, first 2 shown]
	ds_store_b32 v39, v72 offset:2340
	ds_store_b32 v39, v73 offset:4940
	;; [unrolled: 1-line block ×3, first 2 shown]
.LBB0_11:
	s_wait_alu 0xfffe
	s_or_b32 exec_lo, exec_lo, s1
	global_wb scope:SCOPE_SE
	s_wait_dscnt 0x0
	s_barrier_signal -1
	s_barrier_wait -1
	global_inv scope:SCOPE_SE
	s_and_saveexec_b32 s1, vcc_lo
	s_cbranch_execz .LBB0_13
; %bb.12:
	global_load_b32 v72, v37, s[20:21] offset:7800
	s_add_nc_u64 s[2:3], s[20:21], 0x1e78
	s_clause 0xb
	global_load_b32 v96, v37, s[2:3] offset:600
	global_load_b32 v97, v37, s[2:3] offset:1200
	;; [unrolled: 1-line block ×12, first 2 shown]
	ds_load_b32 v73, v39
	v_add_nc_u32_e32 v108, 0x200, v37
	v_add_nc_u32_e32 v109, 0x600, v37
	;; [unrolled: 1-line block ×6, first 2 shown]
	s_wait_dscnt 0x0
	v_lshrrev_b32_e32 v74, 16, v73
	s_wait_loadcnt 0xb
	v_lshrrev_b32_e32 v114, 16, v96
	s_wait_loadcnt 0xa
	;; [unrolled: 2-line block ×8, first 2 shown]
	v_lshrrev_b32_e32 v121, 16, v103
	v_lshrrev_b32_e32 v75, 16, v72
	s_wait_loadcnt 0x3
	v_lshrrev_b32_e32 v122, 16, v104
	s_wait_loadcnt 0x2
	;; [unrolled: 2-line block ×4, first 2 shown]
	v_lshrrev_b32_e32 v125, 16, v107
	v_mul_f16_e32 v88, v74, v75
	v_mul_f16_e32 v75, v73, v75
	s_delay_alu instid0(VALU_DEP_2) | instskip(NEXT) | instid1(VALU_DEP_2)
	v_fma_f16 v73, v73, v72, -v88
	v_fmac_f16_e32 v75, v74, v72
	s_delay_alu instid0(VALU_DEP_1)
	v_pack_b32_f16 v72, v73, v75
	ds_store_b32 v39, v72
	ds_load_2addr_b32 v[72:73], v108 offset0:22 offset1:172
	ds_load_2addr_b32 v[74:75], v109 offset0:66 offset1:216
	;; [unrolled: 1-line block ×6, first 2 shown]
	s_wait_dscnt 0x5
	v_lshrrev_b32_e32 v126, 16, v72
	v_lshrrev_b32_e32 v128, 16, v73
	s_wait_dscnt 0x4
	v_lshrrev_b32_e32 v130, 16, v74
	v_lshrrev_b32_e32 v132, 16, v75
	;; [unrolled: 3-line block ×5, first 2 shown]
	v_mul_f16_e32 v127, v72, v114
	v_mul_f16_e64 v129, v73, v115
	s_wait_dscnt 0x0
	v_lshrrev_b32_e32 v146, 16, v94
	v_lshrrev_b32_e32 v148, 16, v95
	v_mul_f16_e32 v114, v126, v114
	v_mul_f16_e64 v115, v128, v115
	v_mul_f16_e64 v131, v74, v116
	;; [unrolled: 1-line block ×19, first 2 shown]
	v_fmac_f16_e32 v127, v126, v96
	v_fmac_f16_e64 v129, v128, v97
	v_mul_f16_e64 v124, v146, v124
	v_mul_f16_e64 v125, v148, v125
	v_fma_f16 v72, v72, v96, -v114
	v_fma_f16 v73, v73, v97, -v115
	v_fmac_f16_e64 v131, v130, v98
	v_fmac_f16_e64 v133, v132, v99
	v_fma_f16 v74, v74, v98, -v116
	v_fma_f16 v75, v75, v99, -v117
	v_fmac_f16_e64 v135, v134, v100
	v_fmac_f16_e64 v137, v136, v101
	;; [unrolled: 4-line block ×5, first 2 shown]
	v_fma_f16 v94, v94, v106, -v124
	v_fma_f16 v95, v95, v107, -v125
	v_pack_b32_f16 v72, v72, v127
	v_pack_b32_f16 v73, v73, v129
	;; [unrolled: 1-line block ×12, first 2 shown]
	ds_store_2addr_b32 v108, v72, v73 offset0:22 offset1:172
	ds_store_2addr_b32 v109, v74, v75 offset0:66 offset1:216
	;; [unrolled: 1-line block ×6, first 2 shown]
.LBB0_13:
	s_wait_alu 0xfffe
	s_or_b32 exec_lo, exec_lo, s1
	global_wb scope:SCOPE_SE
	s_wait_dscnt 0x0
	s_barrier_signal -1
	s_barrier_wait -1
	global_inv scope:SCOPE_SE
	s_and_saveexec_b32 s1, vcc_lo
	s_cbranch_execz .LBB0_15
; %bb.14:
	v_add_nc_u32_e32 v25, 0x400, v39
	v_add_nc_u32_e32 v26, 0x800, v39
	;; [unrolled: 1-line block ×3, first 2 shown]
	ds_load_2addr_b32 v[29:30], v39 offset1:150
	ds_load_2addr_b32 v[33:34], v25 offset0:44 offset1:194
	v_add_nc_u32_e32 v25, 0x1200, v39
	ds_load_2addr_b32 v[31:32], v26 offset0:88 offset1:238
	v_add_nc_u32_e32 v26, 0x1600, v39
	ds_load_2addr_b32 v[35:36], v27 offset0:4 offset1:154
	ds_load_2addr_b32 v[27:28], v25 offset0:48 offset1:198
	;; [unrolled: 1-line block ×3, first 2 shown]
	ds_load_b32 v41, v39 offset:7200
	s_wait_dscnt 0x6
	v_lshrrev_b32_e32 v77, 16, v29
	v_lshrrev_b32_e32 v81, 16, v30
	s_wait_dscnt 0x5
	v_lshrrev_b32_e32 v80, 16, v33
	v_lshrrev_b32_e32 v86, 16, v34
	;; [unrolled: 3-line block ×6, first 2 shown]
	s_wait_dscnt 0x0
	v_lshrrev_b32_e32 v42, 16, v41
.LBB0_15:
	s_wait_alu 0xfffe
	s_or_b32 exec_lo, exec_lo, s1
	s_delay_alu instid0(VALU_DEP_1)
	v_sub_f16_e32 v101, v81, v42
	v_add_f16_e32 v104, v42, v81
	v_add_f16_e32 v88, v41, v30
	v_sub_f16_e32 v100, v80, v76
	v_sub_f16_e32 v90, v30, v41
	v_mul_f16_e32 v107, 0xba95, v101
	v_mul_f16_e32 v111, 0x388b, v104
	v_add_f16_e32 v89, v26, v33
	v_add_f16_e32 v105, v76, v80
	v_mul_f16_e32 v118, 0xbbf1, v101
	v_fma_f16 v72, v88, 0x388b, -v107
	v_mul_f16_e32 v122, 0x2fb7, v104
	v_mul_f16_e32 v108, 0xbb7b, v100
	v_fmamk_f16 v73, v90, 0xba95, v111
	v_fma_f16 v74, v88, 0x2fb7, -v118
	v_add_f16_e32 v72, v29, v72
	v_fmamk_f16 v75, v90, 0xbbf1, v122
	v_fma_f16 v92, v89, 0xb5ac, -v108
	v_sub_f16_e32 v91, v33, v26
	v_mul_f16_e32 v115, 0xb5ac, v105
	v_sub_f16_e32 v102, v86, v83
	v_mul_f16_e32 v123, 0xb3a8, v100
	v_mul_f16_e32 v126, 0xbbc4, v105
	v_add_f16_e32 v110, v83, v86
	v_add_f16_e32 v73, v77, v73
	;; [unrolled: 1-line block ×5, first 2 shown]
	v_fmamk_f16 v94, v91, 0xbb7b, v115
	v_add_f16_e32 v92, v25, v34
	v_mul_f16_e32 v112, 0xb3a8, v102
	v_fma_f16 v95, v89, 0xbbc4, -v123
	v_fmamk_f16 v96, v91, 0xb3a8, v126
	v_sub_f16_e32 v93, v34, v25
	v_mul_f16_e32 v119, 0xbbc4, v110
	v_add_f16_e32 v114, v82, v87
	v_fma_f16 v97, v92, 0xbbc4, -v112
	v_add_f16_e32 v73, v94, v73
	v_add_f16_e32 v74, v95, v74
	;; [unrolled: 1-line block ×3, first 2 shown]
	v_fmamk_f16 v96, v93, 0xb3a8, v119
	v_sub_f16_e32 v103, v87, v82
	v_mul_f16_e64 v128, 0x3b7b, v102
	v_mul_f16_e64 v130, 0xb5ac, v110
	v_sub_f16_e32 v95, v31, v28
	v_mul_f16_e32 v121, 0xb9fd, v114
	v_add_f16_e32 v72, v97, v72
	v_add_f16_e32 v94, v28, v31
	v_mul_f16_e32 v116, 0x394e, v103
	v_fma_f16 v97, v92, 0xb5ac, -v128
	v_fma_f16 v98, 0x3b7b, v93, v130
	v_add_f16_e32 v73, v96, v73
	v_fmamk_f16 v96, v95, 0x394e, v121
	v_mul_f16_e64 v129, 0x3770, v103
	v_sub_f16_e32 v106, v79, v78
	v_fma_f16 v99, v94, 0xb9fd, -v116
	v_add_f16_e32 v74, v97, v74
	v_add_f16_e32 v75, v98, v75
	;; [unrolled: 1-line block ×4, first 2 shown]
	v_fma_f16 v98, v94, 0x3b15, -v129
	v_add_f16_e32 v96, v27, v32
	v_mul_f16_e32 v120, 0x3bf1, v106
	v_mul_f16_e64 v131, 0xba95, v106
	v_add_f16_e32 v72, v99, v72
	v_mul_f16_e64 v132, 0x3b15, v114
	v_sub_f16_e32 v97, v32, v27
	v_mul_f16_e32 v124, 0x2fb7, v117
	v_fma_f16 v109, v96, 0x2fb7, -v120
	v_add_f16_e32 v74, v98, v74
	v_fma_f16 v113, v96, 0x388b, -v131
	v_fma_f16 v99, 0x3770, v95, v132
	v_fmamk_f16 v98, v97, 0x3bf1, v124
	v_add_f16_e32 v72, v109, v72
	v_mul_f16_e64 v133, 0x388b, v117
	v_add_f16_e64 v137, v113, v74
	v_sub_f16_e32 v109, v85, v84
	v_add_f16_e32 v113, v84, v85
	v_add_f16_e32 v75, v99, v75
	v_add_f16_e64 v136, v98, v73
	v_fma_f16 v73, 0xba95, v97, v133
	v_add_f16_e32 v98, v36, v35
	v_sub_f16_e32 v99, v35, v36
	v_mul_f16_e32 v125, 0x3770, v109
	v_mul_f16_e32 v127, 0x3b15, v113
	v_mul_f16_e64 v134, 0xb94e, v109
	v_mul_f16_e64 v135, 0xb9fd, v113
	v_add_f16_e32 v75, v73, v75
	v_fma_f16 v73, v98, 0x3b15, -v125
	v_fmamk_f16 v74, v99, 0x3770, v127
	v_fma_f16 v138, v98, 0xb9fd, -v134
	v_fma_f16 v139, 0xb94e, v99, v135
	global_wb scope:SCOPE_SE
	v_add_f16_e32 v73, v73, v72
	v_add_f16_e64 v74, v74, v136
	v_add_f16_e64 v72, v138, v137
	;; [unrolled: 1-line block ×3, first 2 shown]
	s_barrier_signal -1
	s_barrier_wait -1
	global_inv scope:SCOPE_SE
	s_and_saveexec_b32 s1, vcc_lo
	s_cbranch_execz .LBB0_17
; %bb.16:
	v_mul_f16_e64 v163, 0xb3a8, v101
	v_mul_f16_e64 v167, 0x3770, v100
	;; [unrolled: 1-line block ×5, first 2 shown]
	v_fma_f16 v166, 0xbbc4, v88, v163
	v_fma_f16 v169, 0x3b15, v89, v167
	v_mul_f16_e64 v136, 0x388b, v88
	v_mul_f16_e64 v179, 0xb94e, v101
	;; [unrolled: 1-line block ×3, first 2 shown]
	v_add_f16_e64 v166, v29, v166
	v_mul_f16_e64 v183, 0x3bf1, v100
	v_add_f16_e64 v107, v136, v107
	v_fma_f16 v182, 0xb9fd, v88, v179
	v_mul_f16_e64 v144, 0xbbc4, v92
	v_add_f16_e64 v166, v169, v166
	v_fma_f16 v169, 0xb9fd, v92, v170
	v_fma_f16 v185, 0x2fb7, v89, v183
	v_add_f16_e64 v182, v29, v182
	v_mul_f16_e64 v186, 0xba95, v102
	v_add_f16_e32 v107, v29, v107
	v_add_f16_e64 v166, v169, v166
	v_fma_f16 v169, 0x388b, v94, v172
	v_add_f16_e64 v108, v140, v108
	v_mul_f16_e64 v148, 0xb9fd, v94
	v_mul_f16_e64 v153, 0x2fb7, v96
	;; [unrolled: 1-line block ×3, first 2 shown]
	v_add_f16_e64 v166, v169, v166
	v_fma_f16 v169, 0xb5ac, v96, v174
	v_add_f16_e32 v107, v108, v107
	v_add_f16_e64 v108, v144, v112
	v_mul_f16_e64 v149, 0xbbc4, v104
	v_mul_f16_e64 v161, 0x3b15, v98
	v_add_f16_e64 v166, v169, v166
	v_mul_f16_e64 v169, 0x3bf1, v109
	v_add_f16_e32 v107, v108, v107
	v_add_f16_e64 v108, v148, v116
	v_fma_f16 v154, 0x33a8, v90, v149
	v_mul_f16_e64 v155, 0x3b15, v105
	v_fma_f16 v181, 0x2fb7, v98, v169
	v_add_f16_e32 v30, v30, v29
	v_add_f16_e32 v107, v108, v107
	v_add_f16_e64 v108, v153, v120
	v_add_f16_e64 v154, v77, v154
	;; [unrolled: 1-line block ×4, first 2 shown]
	v_fma_f16 v182, 0x388b, v92, v186
	v_mul_f16_e64 v185, 0x33a8, v103
	v_add_f16_e32 v107, v108, v107
	v_add_f16_e64 v108, v161, v125
	v_fma_f16 v159, 0xb770, v91, v155
	v_add_f16_e64 v181, v182, v181
	v_fma_f16 v182, 0xbbc4, v94, v185
	v_mul_f16_e64 v160, 0xb9fd, v110
	v_mul_f16_e64 v196, 0x394e, v100
	v_add_f16_e32 v107, v108, v107
	v_mul_f16_e32 v100, 0xba95, v100
	v_add_f16_e64 v181, v182, v181
	v_fma_f16 v182, 0x3b15, v96, v188
	v_add_f16_e32 v30, v33, v30
	v_add_f16_e32 v33, v81, v77
	v_add_f16_e64 v154, v159, v154
	v_fma_f16 v159, 0x394e, v93, v160
	v_add_f16_e64 v181, v182, v181
	v_mul_f16_e64 v182, 0xbb7b, v101
	v_mul_f16_e32 v101, 0xb770, v101
	v_mul_f16_e64 v164, 0x388b, v114
	v_mul_f16_e64 v199, 0x3770, v102
	v_mul_f16_e32 v102, 0xbbf1, v102
	v_add_f16_e32 v30, v34, v30
	v_fmamk_f16 v108, v88, 0x3b15, v101
	v_add_f16_e32 v33, v80, v33
	v_add_f16_e64 v154, v159, v154
	v_fma_f16 v159, 0xba95, v95, v164
	v_mul_f16_e64 v168, 0xb5ac, v117
	v_add_f16_e32 v81, v29, v108
	v_fmamk_f16 v108, v89, 0x388b, v100
	v_add_f16_e32 v30, v31, v30
	v_add_f16_e32 v31, v86, v33
	v_mul_f16_e32 v33, 0xbb7b, v103
	v_add_f16_e64 v154, v159, v154
	v_add_f16_e32 v80, v108, v81
	v_fmamk_f16 v81, v92, 0x2fb7, v102
	v_fma_f16 v159, 0x3b7b, v97, v168
	v_add_f16_e32 v30, v32, v30
	v_add_f16_e32 v31, v87, v31
	v_fmamk_f16 v32, v94, 0xb5ac, v33
	v_add_f16_e32 v80, v81, v80
	v_mul_f16_e32 v81, 0xb94e, v106
	v_add_f16_e64 v154, v159, v154
	v_mul_f16_e64 v159, 0x2fb7, v113
	v_mul_f16_e64 v173, 0xb9fd, v104
	v_add_f16_e32 v30, v35, v30
	v_add_f16_e32 v31, v79, v31
	;; [unrolled: 1-line block ×3, first 2 shown]
	v_fmamk_f16 v35, v96, 0xb9fd, v81
	v_mul_f16_e32 v79, 0xb3a8, v109
	v_fma_f16 v175, 0xbbf1, v99, v159
	v_fma_f16 v176, 0x394e, v90, v173
	v_mul_f16_e64 v177, 0x2fb7, v105
	v_add_f16_e32 v30, v36, v30
	v_add_f16_e32 v31, v85, v31
	v_fmac_f16_e64 v149, 0xb3a8, v90
	v_add_f16_e32 v32, v35, v32
	v_fmamk_f16 v35, v98, 0xbbc4, v79
	v_add_f16_e64 v154, v175, v154
	v_add_f16_e64 v175, v77, v176
	v_fma_f16 v176, 0xbbf1, v91, v177
	v_mul_f16_e64 v178, 0x388b, v110
	v_add_f16_e32 v27, v27, v30
	v_add_f16_e32 v30, v84, v31
	v_add_f16_e64 v31, v77, v149
	v_fmac_f16_e64 v155, 0x3770, v91
	v_add_f16_e32 v32, v35, v32
	v_fma_f16 v35, v88, 0xbbc4, -v163
	v_add_f16_e64 v175, v176, v175
	v_fma_f16 v176, 0x3a95, v93, v178
	v_mul_f16_e64 v180, 0xbbc4, v114
	v_add_f16_e32 v27, v28, v27
	v_add_f16_e32 v28, v78, v30
	v_add_f16_e64 v30, v155, v31
	v_fmac_f16_e64 v160, 0xb94e, v93
	v_add_f16_e32 v31, v29, v35
	v_fma_f16 v35, v89, 0x3b15, -v167
	v_mul_f16_e64 v138, 0x2fb7, v88
	v_add_f16_e64 v175, v176, v175
	v_fma_f16 v176, 0xb3a8, v95, v180
	v_mul_f16_e64 v184, 0x3b15, v117
	v_add_f16_e32 v25, v25, v27
	v_add_f16_e32 v27, v82, v28
	v_add_f16_e64 v28, v160, v30
	v_fmac_f16_e64 v164, 0x3a95, v95
	v_add_f16_e32 v30, v35, v31
	v_fma_f16 v31, v92, 0xb9fd, -v170
	v_mul_f16_e64 v142, 0xbbc4, v89
	v_add_f16_e64 v175, v176, v175
	v_fma_f16 v176, 0xb770, v97, v184
	v_add_f16_e64 v118, v138, v118
	v_add_f16_e32 v25, v26, v25
	v_add_f16_e32 v26, v83, v27
	v_add_f16_e64 v27, v164, v28
	v_add_f16_e32 v28, v31, v30
	v_fma_f16 v31, v88, 0xb9fd, -v179
	v_mul_f16_e64 v137, 0xba95, v90
	v_mul_f16_e64 v146, 0xb5ac, v92
	v_add_f16_e64 v175, v176, v175
	v_mul_f16_e64 v176, 0xb5ac, v104
	v_add_f16_e32 v118, v29, v118
	v_add_f16_e64 v123, v142, v123
	v_add_f16_e32 v31, v29, v31
	v_fma_f16 v35, v89, 0x2fb7, -v183
	v_mul_f16_e64 v141, 0xbb7b, v91
	v_mul_f16_e64 v151, 0x3b15, v94
	;; [unrolled: 1-line block ×3, first 2 shown]
	v_fma_f16 v189, 0x3b7b, v90, v176
	v_mul_f16_e64 v190, 0xb9fd, v105
	v_add_f16_e32 v118, v123, v118
	v_add_f16_e64 v123, v146, v128
	v_sub_f16_e64 v111, v111, v137
	v_fmac_f16_e64 v176, 0xbb7b, v90
	v_add_f16_e32 v31, v35, v31
	v_fma_f16 v35, v92, 0x388b, -v186
	v_mul_f16_e64 v145, 0xb3a8, v93
	v_mul_f16_e64 v157, 0x388b, v96
	v_fma_f16 v191, 0x3b7b, v99, v187
	v_add_f16_e64 v189, v77, v189
	v_fma_f16 v192, 0xb94e, v91, v190
	v_mul_f16_e64 v193, 0x3b15, v110
	v_add_f16_e32 v118, v123, v118
	v_add_f16_e64 v123, v151, v129
	v_add_f16_e32 v111, v77, v111
	v_sub_f16_e64 v115, v115, v141
	v_add_f16_e32 v25, v41, v25
	v_add_f16_e64 v41, v77, v176
	v_fmac_f16_e64 v190, 0x394e, v91
	v_add_f16_e32 v31, v35, v31
	v_fma_f16 v35, v94, 0xbbc4, -v185
	v_mul_f16_e64 v150, 0x394e, v95
	v_mul_f16_e64 v165, 0xb9fd, v98
	v_add_f16_e64 v175, v191, v175
	v_add_f16_e64 v189, v192, v189
	v_fma_f16 v191, 0xb770, v93, v193
	v_mul_f16_e64 v192, 0x2fb7, v114
	v_add_f16_e32 v118, v123, v118
	v_add_f16_e64 v123, v157, v131
	v_add_f16_e32 v111, v115, v111
	v_sub_f16_e64 v115, v119, v145
	v_fma_f16 v30, v94, 0x388b, -v172
	v_add_f16_e64 v41, v190, v41
	v_fmac_f16_e64 v193, 0x3770, v93
	v_mul_f16_e64 v194, 0xbb7b, v109
	v_add_f16_e32 v31, v35, v31
	v_fma_f16 v35, v96, 0x3b15, -v188
	v_mul_f16_e64 v156, 0x3bf1, v97
	v_add_f16_e64 v189, v191, v189
	v_fma_f16 v191, 0x3bf1, v95, v192
	v_mul_f16_e64 v197, 0xbbc4, v117
	v_add_f16_e32 v118, v123, v118
	v_add_f16_e64 v119, v165, v134
	v_add_f16_e32 v111, v115, v111
	v_sub_f16_e64 v115, v121, v150
	v_mul_f16_e32 v104, 0x3b15, v104
	v_add_f16_e32 v28, v30, v28
	v_fma_f16 v30, v96, 0xb5ac, -v174
	v_add_f16_e64 v41, v193, v41
	v_fmac_f16_e64 v192, 0xbbf1, v95
	v_mul_f16_e64 v139, 0xbbf1, v90
	v_add_f16_e32 v31, v35, v31
	v_fma_f16 v35, v98, 0xb5ac, -v194
	v_add_f16_e64 v189, v191, v189
	v_fma_f16 v191, 0xb3a8, v97, v197
	v_add_f16_e32 v118, v119, v118
	v_add_f16_e32 v111, v115, v111
	v_sub_f16_e64 v115, v124, v156
	v_fmamk_f16 v119, v90, 0x3770, v104
	v_mul_f16_e32 v105, 0x388b, v105
	v_add_f16_e32 v28, v30, v28
	v_fma_f16 v36, v98, 0x2fb7, -v169
	v_add_f16_e64 v41, v192, v41
	v_fmac_f16_e64 v197, 0x33a8, v97
	v_mul_f16_e64 v143, 0xb3a8, v91
	v_sub_f16_e64 v122, v122, v139
	v_fma_f16 v195, 0xb5ac, v88, v182
	v_add_f16_e32 v26, v76, v26
	v_fmac_f16_e64 v173, 0xb94e, v90
	v_add_f16_e32 v31, v35, v31
	v_fma_f16 v35, v88, 0xb5ac, -v182
	v_mul_f16_e64 v162, 0x3770, v99
	v_add_f16_e32 v111, v115, v111
	v_add_f16_e32 v112, v77, v119
	v_fmamk_f16 v115, v91, 0x3a95, v105
	v_mul_f16_e32 v110, 0x2fb7, v110
	v_add_f16_e32 v28, v36, v28
	v_add_f16_e64 v36, v197, v41
	v_fmac_f16_e32 v104, 0xb770, v90
	v_fma_f16 v41, v88, 0x3b15, -v101
	v_mul_f16_e64 v147, 0x3b7b, v93
	v_add_f16_e32 v122, v77, v122
	v_sub_f16_e64 v126, v126, v143
	v_add_f16_e64 v195, v29, v195
	v_fma_f16 v198, 0xb9fd, v89, v196
	v_mul_f16_e64 v200, 0x388b, v113
	v_add_f16_e32 v26, v42, v26
	v_add_f16_e64 v30, v77, v173
	v_fmac_f16_e64 v177, 0x3bf1, v91
	v_add_f16_e32 v35, v29, v35
	v_fma_f16 v42, v89, 0xb9fd, -v196
	v_sub_f16_e64 v116, v127, v162
	v_add_f16_e32 v112, v115, v112
	v_fmamk_f16 v115, v93, 0x3bf1, v110
	v_mul_f16_e32 v114, 0xb5ac, v114
	v_add_f16_e32 v76, v77, v104
	v_fmac_f16_e32 v105, 0xba95, v91
	v_add_f16_e32 v29, v29, v41
	v_fma_f16 v41, v89, 0x388b, -v100
	v_mul_f16_e64 v152, 0x3770, v95
	v_add_f16_e32 v122, v126, v122
	v_sub_f16_e64 v126, v130, v147
	v_add_f16_e64 v195, v198, v195
	v_fma_f16 v198, 0x3b15, v92, v199
	v_mul_f16_e64 v201, 0xbbf1, v103
	v_add_f16_e64 v189, v191, v189
	v_fma_f16 v191, 0xba95, v99, v200
	v_add_f16_e64 v30, v177, v30
	v_fmac_f16_e64 v178, 0xba95, v93
	v_add_f16_e32 v35, v42, v35
	v_fma_f16 v42, v92, 0x3b15, -v199
	v_add_f16_e32 v111, v116, v111
	v_add_f16_e32 v112, v115, v112
	v_fmamk_f16 v115, v95, 0x3b7b, v114
	v_mul_f16_e32 v116, 0xb9fd, v117
	v_add_f16_e32 v76, v105, v76
	v_fmac_f16_e32 v110, 0xbbf1, v93
	v_add_f16_e32 v29, v41, v29
	v_fma_f16 v41, v92, 0x2fb7, -v102
	v_mul_f16_e64 v158, 0xba95, v97
	v_add_f16_e32 v122, v126, v122
	v_sub_f16_e64 v126, v132, v152
	v_add_f16_e64 v195, v198, v195
	v_fma_f16 v198, 0x2fb7, v94, v201
	v_add_f16_e64 v139, v191, v189
	v_mul_f16_e64 v189, 0x33a8, v106
	v_add_f16_e64 v30, v178, v30
	v_fmac_f16_e64 v180, 0x33a8, v95
	v_add_f16_e32 v35, v42, v35
	v_fma_f16 v42, v94, 0x2fb7, -v201
	v_add_f16_e32 v112, v115, v112
	v_fmamk_f16 v115, v97, 0x394e, v116
	v_mul_f16_e32 v34, 0xbbc4, v113
	v_add_f16_e32 v76, v110, v76
	v_fmac_f16_e32 v114, 0xbb7b, v95
	v_add_f16_e32 v29, v41, v29
	v_fma_f16 v33, v94, 0xb5ac, -v33
	v_mul_f16_e64 v171, 0xb94e, v99
	v_add_f16_e32 v122, v126, v122
	v_sub_f16_e64 v126, v133, v158
	v_add_f16_e64 v191, v198, v195
	v_fma_f16 v138, 0xbbc4, v96, v189
	v_mul_f16_e64 v143, 0x3a95, v109
	v_fmac_f16_e64 v168, 0xbb7b, v97
	v_add_f16_e64 v30, v180, v30
	v_fmac_f16_e64 v184, 0x3770, v97
	v_add_f16_e32 v35, v42, v35
	v_fma_f16 v41, v96, 0xbbc4, -v189
	v_add_f16_e32 v112, v115, v112
	v_fmamk_f16 v86, v99, 0x33a8, v34
	v_add_f16_e32 v42, v114, v76
	v_fmac_f16_e32 v116, 0xb94e, v97
	v_add_f16_e32 v29, v33, v29
	v_fma_f16 v33, v96, 0xb9fd, -v81
	v_add_f16_e32 v122, v126, v122
	v_sub_f16_e64 v126, v135, v171
	v_fma_f16 v202, 0xb5ac, v98, v194
	v_add_f16_e64 v130, v138, v191
	v_fma_f16 v138, 0x388b, v98, v143
	v_add_f16_e64 v27, v168, v27
	v_fmac_f16_e64 v159, 0x3bf1, v99
	v_add_f16_e64 v30, v184, v30
	v_fmac_f16_e64 v187, 0xbb7b, v99
	v_fmac_f16_e64 v200, 0x3a95, v99
	v_add_f16_e32 v35, v41, v35
	v_fma_f16 v41, v98, 0x388b, -v143
	v_add_f16_e32 v86, v86, v112
	v_add_f16_e32 v42, v116, v42
	v_fmac_f16_e32 v34, 0xb3a8, v99
	v_add_f16_e32 v29, v33, v29
	v_fma_f16 v33, v98, 0xbbc4, -v79
	v_and_b32_e32 v40, 0xffff, v40
	v_add_f16_e32 v122, v126, v122
	v_add_f16_e64 v181, v202, v181
	v_add_f16_e64 v128, v138, v130
	;; [unrolled: 1-line block ×5, first 2 shown]
	v_add_f16_e32 v35, v41, v35
	v_add_f16_e32 v34, v34, v42
	;; [unrolled: 1-line block ×3, first 2 shown]
	v_lshlrev_b32_e32 v33, 2, v40
	v_pack_b32_f16 v32, v32, v86
	v_pack_b32_f16 v25, v25, v26
	v_pack_b32_f16 v26, v118, v122
	v_pack_b32_f16 v40, v107, v111
	v_pack_b32_f16 v41, v181, v175
	v_pack_b32_f16 v42, v128, v139
	v_pack_b32_f16 v27, v28, v27
	v_pack_b32_f16 v28, v166, v154
	v_pack_b32_f16 v35, v35, v36
	v_pack_b32_f16 v30, v31, v30
	v_perm_b32 v31, v74, v73, 0x5040100
	v_perm_b32 v36, v75, v72, 0x5040100
	v_pack_b32_f16 v29, v29, v34
	ds_store_2addr_b32 v33, v25, v32 offset1:1
	ds_store_2addr_b32 v33, v40, v26 offset0:2 offset1:3
	ds_store_2addr_b32 v33, v42, v41 offset0:4 offset1:5
	;; [unrolled: 1-line block ×5, first 2 shown]
	ds_store_b32 v33, v29 offset:48
.LBB0_17:
	s_wait_alu 0xfffe
	s_or_b32 exec_lo, exec_lo, s1
	v_add_nc_u32_e32 v35, 0x600, v39
	v_add_nc_u32_e32 v36, 0xc00, v39
	;; [unrolled: 1-line block ×4, first 2 shown]
	global_wb scope:SCOPE_SE
	s_wait_dscnt 0x0
	s_barrier_signal -1
	s_barrier_wait -1
	global_inv scope:SCOPE_SE
	ds_load_2addr_b32 v[25:26], v39 offset1:195
	ds_load_2addr_b32 v[27:28], v35 offset0:6 offset1:201
	ds_load_2addr_b32 v[29:30], v36 offset0:12 offset1:207
	;; [unrolled: 1-line block ×4, first 2 shown]
	global_wb scope:SCOPE_SE
	s_wait_dscnt 0x0
	s_barrier_signal -1
	s_barrier_wait -1
	global_inv scope:SCOPE_SE
	v_lshrrev_b32_e32 v77, 16, v27
	v_lshrrev_b32_e32 v78, 16, v29
	;; [unrolled: 1-line block ×5, first 2 shown]
	v_mul_f16_e32 v84, v54, v27
	v_mul_f16_e32 v86, v55, v29
	;; [unrolled: 1-line block ×6, first 2 shown]
	v_lshrrev_b32_e32 v82, 16, v30
	v_fma_f16 v77, v4, v77, -v84
	v_fma_f16 v78, v5, v78, -v86
	v_mul_f16_e32 v84, v51, v80
	v_fma_f16 v79, v6, v79, -v87
	v_fmac_f16_e32 v54, v4, v27
	v_fmac_f16_e32 v55, v5, v29
	;; [unrolled: 1-line block ×3, first 2 shown]
	v_mul_f16_e32 v4, v51, v33
	v_mul_f16_e32 v5, v56, v81
	;; [unrolled: 1-line block ×3, first 2 shown]
	v_lshrrev_b32_e32 v83, 16, v32
	v_lshrrev_b32_e32 v85, 16, v34
	v_fmac_f16_e32 v84, v7, v33
	v_mul_f16_e32 v27, v53, v82
	v_mul_f16_e32 v29, v53, v30
	v_fma_f16 v4, v7, v80, -v4
	v_fmac_f16_e32 v5, v0, v28
	v_fma_f16 v0, v0, v81, -v6
	v_add_f16_e32 v6, v55, v52
	v_lshrrev_b32_e32 v42, 16, v25
	v_fmac_f16_e32 v27, v1, v30
	v_fma_f16 v1, v1, v82, -v29
	v_mul_f16_e32 v7, v50, v83
	v_mul_f16_e32 v28, v50, v32
	;; [unrolled: 1-line block ×3, first 2 shown]
	v_add_f16_e32 v30, v25, v54
	v_fma_f16 v6, -0.5, v6, v25
	v_sub_f16_e32 v31, v77, v4
	v_add_f16_e32 v51, v54, v84
	v_fmac_f16_e32 v7, v2, v32
	v_fma_f16 v2, v2, v83, -v28
	v_fmac_f16_e32 v29, v3, v34
	v_add_f16_e32 v28, v30, v55
	v_fmamk_f16 v30, v31, 0xbb9c, v6
	v_sub_f16_e32 v32, v78, v79
	v_sub_f16_e32 v33, v54, v55
	;; [unrolled: 1-line block ×3, first 2 shown]
	v_mul_f16_e32 v34, v49, v34
	v_fma_f16 v25, -0.5, v51, v25
	v_fmac_f16_e32 v6, 0x3b9c, v31
	v_add_f16_e32 v51, v42, v77
	v_fmac_f16_e32 v30, 0xb8b4, v32
	v_add_f16_e32 v33, v33, v50
	v_fma_f16 v3, v3, v85, -v34
	v_fmamk_f16 v34, v32, 0x3b9c, v25
	v_sub_f16_e32 v49, v55, v54
	v_sub_f16_e32 v50, v52, v84
	v_fmac_f16_e32 v6, 0x38b4, v32
	v_add_f16_e32 v53, v78, v79
	v_fmac_f16_e32 v25, 0xbb9c, v32
	v_add_f16_e32 v32, v51, v78
	v_fmac_f16_e32 v30, 0x34f2, v33
	v_fmac_f16_e32 v34, 0xb8b4, v31
	v_add_f16_e32 v49, v49, v50
	v_fma_f16 v50, -0.5, v53, v42
	v_sub_f16_e32 v51, v54, v84
	v_fmac_f16_e32 v6, 0x34f2, v33
	v_fmac_f16_e32 v25, 0x38b4, v31
	v_add_f16_e32 v31, v32, v79
	v_add_f16_e32 v33, v77, v4
	v_sub_f16_e32 v53, v77, v78
	v_sub_f16_e32 v54, v4, v79
	v_add_f16_e32 v28, v28, v52
	v_fmamk_f16 v32, v51, 0x3b9c, v50
	v_sub_f16_e32 v52, v55, v52
	v_fmac_f16_e32 v42, -0.5, v33
	v_add_f16_e32 v31, v31, v4
	v_add_f16_e32 v33, v53, v54
	v_fmac_f16_e32 v50, 0xbb9c, v51
	v_sub_f16_e32 v53, v78, v77
	v_sub_f16_e32 v4, v79, v4
	v_add_f16_e32 v54, v27, v7
	v_fmac_f16_e32 v34, 0x34f2, v49
	v_fmac_f16_e32 v25, 0x34f2, v49
	;; [unrolled: 1-line block ×3, first 2 shown]
	v_fmamk_f16 v49, v52, 0xbb9c, v42
	v_fmac_f16_e32 v50, 0xb8b4, v52
	v_add_f16_e32 v4, v53, v4
	v_fmac_f16_e32 v42, 0x3b9c, v52
	v_add_f16_e32 v52, v26, v5
	v_fma_f16 v53, -0.5, v54, v26
	v_sub_f16_e32 v54, v0, v3
	v_fmac_f16_e32 v32, 0x34f2, v33
	v_fmac_f16_e32 v49, 0x38b4, v51
	;; [unrolled: 1-line block ×4, first 2 shown]
	v_add_f16_e32 v33, v52, v27
	v_fmamk_f16 v51, v54, 0xbb9c, v53
	v_sub_f16_e32 v52, v1, v2
	v_sub_f16_e32 v55, v5, v27
	v_sub_f16_e32 v56, v29, v7
	v_fmac_f16_e32 v53, 0x3b9c, v54
	v_add_f16_e32 v77, v5, v29
	v_lshrrev_b32_e32 v76, 16, v26
	v_add_f16_e32 v33, v33, v7
	v_fmac_f16_e32 v51, 0xb8b4, v52
	v_add_f16_e32 v55, v55, v56
	v_fmac_f16_e32 v53, 0x38b4, v52
	v_fmac_f16_e32 v26, -0.5, v77
	v_sub_f16_e32 v56, v27, v5
	v_sub_f16_e32 v77, v7, v29
	v_fmac_f16_e32 v49, 0x34f2, v4
	v_fmac_f16_e32 v42, 0x34f2, v4
	v_add_f16_e32 v4, v33, v29
	v_fmac_f16_e32 v51, 0x34f2, v55
	v_fmac_f16_e32 v53, 0x34f2, v55
	v_fmamk_f16 v33, v52, 0x3b9c, v26
	v_add_f16_e32 v55, v1, v2
	v_fmac_f16_e32 v26, 0xbb9c, v52
	v_add_f16_e32 v52, v76, v0
	v_sub_f16_e32 v5, v5, v29
	v_add_f16_e32 v29, v56, v77
	v_add_f16_e32 v56, v0, v3
	v_fma_f16 v55, -0.5, v55, v76
	v_fmac_f16_e32 v33, 0xb8b4, v54
	v_fmac_f16_e32 v26, 0x38b4, v54
	v_add_f16_e32 v52, v52, v1
	v_sub_f16_e32 v7, v27, v7
	v_fmac_f16_e32 v76, -0.5, v56
	v_fmamk_f16 v54, v5, 0x3b9c, v55
	v_fmac_f16_e32 v33, 0x34f2, v29
	v_fmac_f16_e32 v26, 0x34f2, v29
	v_add_f16_e32 v27, v52, v2
	v_sub_f16_e32 v29, v0, v1
	v_sub_f16_e32 v52, v3, v2
	v_fmac_f16_e32 v55, 0xbb9c, v5
	v_fmamk_f16 v56, v7, 0xbb9c, v76
	v_sub_f16_e32 v0, v1, v0
	v_sub_f16_e32 v1, v2, v3
	v_fmac_f16_e32 v76, 0x3b9c, v7
	v_add_f16_e32 v28, v28, v84
	v_fmac_f16_e32 v54, 0x38b4, v7
	v_add_f16_e32 v2, v29, v52
	v_fmac_f16_e32 v55, 0xb8b4, v7
	v_fmac_f16_e32 v56, 0x38b4, v5
	v_add_f16_e32 v0, v0, v1
	v_fmac_f16_e32 v76, 0xb8b4, v5
	v_fmac_f16_e32 v54, 0x34f2, v2
	v_fmac_f16_e32 v55, 0x34f2, v2
	v_pack_b32_f16 v2, v30, v32
	v_fmac_f16_e32 v56, 0x34f2, v0
	v_fmac_f16_e32 v76, 0x34f2, v0
	v_pack_b32_f16 v0, v28, v31
	v_add_f16_e32 v1, v27, v3
	v_pack_b32_f16 v3, v6, v50
	v_pack_b32_f16 v5, v33, v56
	v_pack_b32_f16 v6, v26, v76
	ds_store_2addr_b32 v43, v0, v2 offset1:13
	v_pack_b32_f16 v0, v34, v49
	v_pack_b32_f16 v2, v25, v42
	v_pack_b32_f16 v1, v4, v1
	v_pack_b32_f16 v4, v51, v54
	v_pack_b32_f16 v7, v53, v55
	ds_store_2addr_b32 v43, v0, v2 offset0:26 offset1:39
	ds_store_b32 v43, v3 offset:208
	ds_store_2addr_b32 v44, v1, v4 offset1:13
	ds_store_2addr_b32 v44, v5, v6 offset0:26 offset1:39
	ds_store_b32 v44, v7 offset:208
	global_wb scope:SCOPE_SE
	s_wait_dscnt 0x0
	s_barrier_signal -1
	s_barrier_wait -1
	global_inv scope:SCOPE_SE
	ds_load_2addr_b32 v[0:1], v39 offset1:195
	ds_load_2addr_b32 v[2:3], v35 offset0:6 offset1:201
	ds_load_2addr_b32 v[4:5], v36 offset0:12 offset1:207
	;; [unrolled: 1-line block ×4, first 2 shown]
	global_wb scope:SCOPE_SE
	s_wait_dscnt 0x0
	s_barrier_signal -1
	s_barrier_wait -1
	global_inv scope:SCOPE_SE
	v_lshrrev_b32_e32 v28, 16, v1
	v_lshrrev_b32_e32 v29, 16, v2
	;; [unrolled: 1-line block ×4, first 2 shown]
	v_mul_f16_e32 v40, v71, v1
	v_mul_f16_e32 v35, v71, v28
	;; [unrolled: 1-line block ×3, first 2 shown]
	v_lshrrev_b32_e32 v32, 16, v5
	v_lshrrev_b32_e32 v33, 16, v6
	;; [unrolled: 1-line block ×3, first 2 shown]
	v_fmac_f16_e32 v35, v12, v1
	v_mul_f16_e32 v1, v70, v2
	v_fma_f16 v12, v12, v28, -v40
	v_fmac_f16_e32 v41, v13, v2
	v_mul_f16_e32 v2, v69, v30
	v_mul_f16_e32 v28, v69, v3
	v_fma_f16 v1, v13, v29, -v1
	v_mul_f16_e32 v13, v68, v31
	v_mul_f16_e32 v29, v68, v4
	v_lshrrev_b32_e32 v36, 16, v25
	v_fmac_f16_e32 v2, v14, v3
	v_fma_f16 v3, v14, v30, -v28
	v_mul_f16_e32 v14, v67, v32
	v_fmac_f16_e32 v13, v15, v4
	v_fma_f16 v4, v15, v31, -v29
	v_mul_f16_e32 v15, v67, v5
	v_mul_f16_e32 v28, v66, v33
	v_fmac_f16_e32 v14, v8, v5
	v_mul_f16_e32 v29, v65, v34
	v_mul_f16_e32 v5, v66, v6
	v_fma_f16 v8, v8, v32, -v15
	v_mul_f16_e32 v15, v64, v36
	v_fmac_f16_e32 v28, v9, v6
	v_mul_f16_e32 v6, v64, v25
	v_fmac_f16_e32 v29, v10, v7
	v_mul_f16_e32 v7, v65, v7
	v_fmac_f16_e32 v15, v11, v25
	v_lshrrev_b32_e32 v42, 16, v26
	v_fma_f16 v5, v9, v33, -v5
	v_add_f16_e32 v9, v13, v28
	v_fma_f16 v6, v11, v36, -v6
	v_add_f16_e32 v31, v0, v41
	;; [unrolled: 2-line block ×3, first 2 shown]
	v_lshrrev_b32_e32 v27, 16, v0
	v_mul_f16_e32 v30, v63, v42
	v_fma_f16 v9, -0.5, v9, v0
	v_sub_f16_e32 v32, v1, v6
	v_add_f16_e32 v10, v31, v13
	v_sub_f16_e32 v25, v4, v5
	v_sub_f16_e32 v31, v41, v13
	;; [unrolled: 1-line block ×3, first 2 shown]
	v_fmac_f16_e32 v0, -0.5, v34
	v_fmac_f16_e32 v30, v46, v26
	v_fmamk_f16 v11, v32, 0xbb9c, v9
	v_mul_f16_e32 v26, v63, v26
	v_add_f16_e32 v31, v31, v33
	v_fmac_f16_e32 v9, 0x3b9c, v32
	v_fmamk_f16 v33, v25, 0x3b9c, v0
	v_add_f16_e32 v40, v27, v1
	v_fmac_f16_e32 v0, 0xbb9c, v25
	v_fmac_f16_e32 v11, 0xb8b4, v25
	v_fma_f16 v26, v46, v42, -v26
	v_sub_f16_e32 v34, v13, v41
	v_sub_f16_e32 v36, v28, v15
	v_fmac_f16_e32 v9, 0x38b4, v25
	v_add_f16_e32 v42, v4, v5
	v_fmac_f16_e32 v33, 0xb8b4, v32
	v_add_f16_e32 v25, v40, v4
	;; [unrolled: 2-line block ×3, first 2 shown]
	v_add_f16_e32 v10, v10, v28
	v_add_f16_e32 v34, v34, v36
	v_fma_f16 v36, -0.5, v42, v27
	v_add_f16_e32 v25, v25, v5
	v_sub_f16_e32 v13, v13, v28
	v_sub_f16_e32 v28, v1, v4
	;; [unrolled: 1-line block ×3, first 2 shown]
	v_fmac_f16_e32 v27, -0.5, v32
	v_sub_f16_e32 v1, v4, v1
	v_sub_f16_e32 v4, v5, v6
	v_add_f16_e32 v5, v35, v2
	v_add_f16_e32 v10, v10, v15
	v_sub_f16_e32 v15, v41, v15
	v_fmamk_f16 v32, v13, 0xbb9c, v27
	v_add_f16_e32 v1, v1, v4
	v_fmac_f16_e32 v27, 0x3b9c, v13
	v_add_f16_e32 v4, v5, v14
	v_fmac_f16_e32 v11, 0x34f2, v31
	v_fmac_f16_e32 v9, 0x34f2, v31
	v_fmamk_f16 v31, v15, 0x3b9c, v36
	v_fmac_f16_e32 v36, 0xbb9c, v15
	v_add_f16_e32 v5, v14, v29
	v_add_f16_e32 v25, v25, v6
	v_fmac_f16_e32 v32, 0x38b4, v15
	v_fmac_f16_e32 v27, 0xb8b4, v15
	v_add_f16_e32 v4, v4, v29
	v_add_f16_e32 v6, v2, v30
	v_fmac_f16_e32 v31, 0x38b4, v13
	v_fmac_f16_e32 v36, 0xb8b4, v13
	v_fma_f16 v5, -0.5, v5, v35
	v_sub_f16_e32 v13, v3, v26
	v_add_f16_e32 v28, v28, v40
	v_fmac_f16_e32 v32, 0x34f2, v1
	v_fmac_f16_e32 v27, 0x34f2, v1
	v_add_f16_e32 v1, v4, v30
	v_sub_f16_e32 v4, v8, v7
	v_fmac_f16_e32 v35, -0.5, v6
	v_fmamk_f16 v6, v13, 0xbb9c, v5
	v_fmac_f16_e32 v5, 0x3b9c, v13
	v_fmac_f16_e32 v33, 0x34f2, v34
	;; [unrolled: 1-line block ×5, first 2 shown]
	v_sub_f16_e32 v15, v2, v14
	v_sub_f16_e32 v28, v30, v29
	v_fmamk_f16 v34, v4, 0x3b9c, v35
	v_fmac_f16_e32 v35, 0xbb9c, v4
	v_sub_f16_e32 v40, v14, v2
	v_sub_f16_e32 v41, v29, v30
	v_fmac_f16_e32 v6, 0xb8b4, v4
	v_fmac_f16_e32 v5, 0x38b4, v4
	v_add_f16_e32 v4, v8, v7
	v_add_f16_e32 v15, v15, v28
	v_fmac_f16_e32 v34, 0xb8b4, v13
	v_fmac_f16_e32 v35, 0x38b4, v13
	v_add_f16_e32 v13, v3, v26
	v_add_f16_e32 v28, v40, v41
	v_fma_f16 v4, -0.5, v4, v12
	v_sub_f16_e32 v2, v2, v30
	v_fmac_f16_e32 v6, 0x34f2, v15
	v_fmac_f16_e32 v5, 0x34f2, v15
	v_add_f16_e32 v15, v12, v3
	v_sub_f16_e32 v14, v14, v29
	v_fmac_f16_e32 v12, -0.5, v13
	v_fmac_f16_e32 v34, 0x34f2, v28
	v_fmac_f16_e32 v35, 0x34f2, v28
	v_fmamk_f16 v13, v2, 0x3b9c, v4
	v_sub_f16_e32 v28, v3, v8
	v_sub_f16_e32 v29, v26, v7
	v_fmamk_f16 v30, v14, 0xbb9c, v12
	v_sub_f16_e32 v3, v8, v3
	v_sub_f16_e32 v40, v7, v26
	v_fmac_f16_e32 v12, 0x3b9c, v14
	v_fmac_f16_e32 v4, 0xbb9c, v2
	;; [unrolled: 1-line block ×3, first 2 shown]
	v_add_f16_e32 v28, v28, v29
	v_fmac_f16_e32 v30, 0x38b4, v2
	v_add_f16_e32 v3, v3, v40
	v_fmac_f16_e32 v12, 0xb8b4, v2
	v_fmac_f16_e32 v4, 0xb8b4, v14
	v_add_f16_e32 v2, v15, v8
	v_fmac_f16_e32 v13, 0x34f2, v28
	v_fmac_f16_e32 v30, 0x34f2, v3
	;; [unrolled: 1-line block ×4, first 2 shown]
	v_add_f16_e32 v2, v2, v7
	v_mul_f16_e32 v3, 0xb8b4, v13
	v_mul_f16_e32 v13, 0x3a79, v13
	;; [unrolled: 1-line block ×8, first 2 shown]
	v_add_f16_e32 v2, v2, v26
	v_fmac_f16_e32 v3, 0x3a79, v6
	v_fmac_f16_e32 v13, 0x38b4, v6
	;; [unrolled: 1-line block ×8, first 2 shown]
	v_add_f16_e32 v15, v10, v1
	v_add_f16_e32 v26, v11, v3
	;; [unrolled: 1-line block ×10, first 2 shown]
	v_sub_f16_e32 v1, v10, v1
	v_sub_f16_e32 v2, v25, v2
	;; [unrolled: 1-line block ×10, first 2 shown]
	v_pack_b32_f16 v4, v15, v5
	v_pack_b32_f16 v5, v26, v34
	;; [unrolled: 1-line block ×6, first 2 shown]
	v_add_nc_u32_e32 v2, 0x400, v45
	v_pack_b32_f16 v3, v3, v8
	v_pack_b32_f16 v8, v10, v9
	;; [unrolled: 1-line block ×4, first 2 shown]
	v_add_nc_u32_e32 v10, 0x800, v45
	ds_store_2addr_b32 v45, v4, v5 offset1:65
	ds_store_2addr_b32 v45, v12, v13 offset0:130 offset1:195
	ds_store_2addr_b32 v2, v14, v1 offset0:4 offset1:69
	ds_store_2addr_b32 v2, v3, v8 offset0:134 offset1:199
	ds_store_2addr_b32 v10, v0, v9 offset0:8 offset1:73
	v_add_nc_u32_e32 v8, 0xa00, v39
	v_add_nc_u32_e32 v9, 0x1400, v39
	global_wb scope:SCOPE_SE
	s_wait_dscnt 0x0
	s_barrier_signal -1
	s_barrier_wait -1
	global_inv scope:SCOPE_SE
	ds_load_2addr_b32 v[0:1], v39 offset1:195
	ds_load_2addr_b32 v[4:5], v8 offset0:10 offset1:205
	ds_load_2addr_b32 v[2:3], v9 offset0:20 offset1:215
	ds_load_b32 v10, v39 offset:1560
	ds_load_b32 v12, v39 offset:4160
	;; [unrolled: 1-line block ×3, first 2 shown]
	s_and_saveexec_b32 s1, s0
	s_cbranch_execz .LBB0_19
; %bb.18:
	ds_load_b32 v6, v39 offset:2340
	ds_load_b32 v72, v39 offset:4940
	ds_load_b32 v73, v39 offset:7540
	s_wait_dscnt 0x2
	v_lshrrev_b32_e32 v7, 16, v6
	s_wait_dscnt 0x1
	v_lshrrev_b32_e32 v75, 16, v72
	;; [unrolled: 2-line block ×3, first 2 shown]
.LBB0_19:
	s_wait_alu 0xfffe
	s_or_b32 exec_lo, exec_lo, s1
	s_wait_dscnt 0x4
	v_lshrrev_b32_e32 v14, 16, v4
	s_wait_dscnt 0x3
	v_lshrrev_b32_e32 v15, 16, v2
	v_lshrrev_b32_e32 v26, 16, v5
	;; [unrolled: 1-line block ×3, first 2 shown]
	v_mul_f16_e32 v31, v62, v4
	v_mul_f16_e32 v29, v62, v14
	s_wait_dscnt 0x1
	v_lshrrev_b32_e32 v30, 16, v12
	v_mul_f16_e32 v33, v60, v15
	s_wait_dscnt 0x0
	v_lshrrev_b32_e32 v32, 16, v11
	v_fma_f16 v14, v21, v14, -v31
	v_fmac_f16_e32 v29, v21, v4
	v_mul_f16_e32 v4, v60, v2
	v_mul_f16_e32 v21, v61, v26
	v_fmac_f16_e32 v33, v22, v2
	v_mul_f16_e32 v2, v61, v5
	v_lshrrev_b32_e32 v13, 16, v0
	v_fma_f16 v4, v22, v15, -v4
	v_mul_f16_e32 v15, v59, v27
	v_fmac_f16_e32 v21, v23, v5
	v_mul_f16_e32 v5, v59, v3
	v_mul_f16_e32 v22, v58, v30
	v_fma_f16 v2, v23, v26, -v2
	v_fmac_f16_e32 v15, v24, v3
	v_mul_f16_e32 v3, v58, v12
	v_mul_f16_e32 v23, v57, v32
	v_fmac_f16_e32 v22, v19, v12
	v_mul_f16_e32 v12, v57, v11
	v_lshrrev_b32_e32 v25, 16, v1
	v_fma_f16 v3, v19, v30, -v3
	v_add_f16_e32 v19, v29, v33
	v_fmac_f16_e32 v23, v20, v11
	v_add_f16_e32 v11, v0, v29
	v_fma_f16 v12, v20, v32, -v12
	v_add_f16_e32 v20, v14, v4
	v_fma_f16 v0, -0.5, v19, v0
	v_sub_f16_e32 v19, v14, v4
	v_add_f16_e32 v14, v13, v14
	v_fma_f16 v5, v24, v27, -v5
	v_fmac_f16_e32 v13, -0.5, v20
	v_sub_f16_e32 v20, v29, v33
	v_add_f16_e32 v26, v1, v21
	v_add_f16_e32 v4, v14, v4
	;; [unrolled: 1-line block ×3, first 2 shown]
	v_fmamk_f16 v24, v19, 0xbaee, v0
	v_fmac_f16_e32 v0, 0x3aee, v19
	v_fmamk_f16 v19, v20, 0x3aee, v13
	v_fmac_f16_e32 v13, 0xbaee, v20
	v_add_f16_e32 v20, v2, v5
	v_fmac_f16_e32 v1, -0.5, v14
	v_sub_f16_e32 v14, v2, v5
	v_add_f16_e32 v2, v25, v2
	v_lshrrev_b32_e32 v28, 16, v10
	v_add_f16_e32 v26, v26, v15
	v_sub_f16_e32 v15, v21, v15
	v_add_f16_e32 v21, v22, v23
	v_add_f16_e32 v27, v3, v12
	v_add_f16_e32 v11, v11, v33
	v_fmac_f16_e32 v25, -0.5, v20
	v_add_f16_e32 v2, v2, v5
	v_fmamk_f16 v20, v14, 0xbaee, v1
	v_fmac_f16_e32 v1, 0x3aee, v14
	v_add_f16_e32 v14, v10, v22
	v_fmac_f16_e32 v10, -0.5, v21
	v_sub_f16_e32 v21, v3, v12
	v_add_f16_e32 v3, v28, v3
	v_fmac_f16_e32 v28, -0.5, v27
	v_sub_f16_e32 v22, v22, v23
	v_fmamk_f16 v5, v15, 0x3aee, v25
	v_pack_b32_f16 v4, v11, v4
	v_pack_b32_f16 v2, v26, v2
	v_fmac_f16_e32 v25, 0xbaee, v15
	v_add_f16_e32 v14, v14, v23
	v_add_f16_e32 v3, v3, v12
	v_fmamk_f16 v15, v21, 0xbaee, v10
	v_fmamk_f16 v11, v22, 0x3aee, v28
	v_fmac_f16_e32 v10, 0x3aee, v21
	v_fmac_f16_e32 v28, 0xbaee, v22
	v_pack_b32_f16 v12, v24, v19
	ds_store_2addr_b32 v39, v4, v2 offset1:195
	v_pack_b32_f16 v2, v20, v5
	v_pack_b32_f16 v0, v0, v13
	;; [unrolled: 1-line block ×6, first 2 shown]
	ds_store_2addr_b32 v8, v12, v2 offset0:10 offset1:205
	ds_store_2addr_b32 v9, v0, v1 offset0:20 offset1:215
	ds_store_b32 v39, v3 offset:1560
	ds_store_b32 v39, v4 offset:4160
	;; [unrolled: 1-line block ×3, first 2 shown]
	s_and_saveexec_b32 s1, s0
	s_cbranch_execz .LBB0_21
; %bb.20:
	v_mul_f16_e32 v0, v48, v72
	v_mul_f16_e32 v1, v47, v73
	;; [unrolled: 1-line block ×4, first 2 shown]
	s_delay_alu instid0(VALU_DEP_4) | instskip(NEXT) | instid1(VALU_DEP_4)
	v_fma_f16 v0, v17, v75, -v0
	v_fma_f16 v1, v18, v74, -v1
	s_delay_alu instid0(VALU_DEP_4) | instskip(NEXT) | instid1(VALU_DEP_4)
	v_fmac_f16_e32 v2, v17, v72
	v_fmac_f16_e32 v3, v18, v73
	s_delay_alu instid0(VALU_DEP_4) | instskip(NEXT) | instid1(VALU_DEP_4)
	v_add_f16_e32 v9, v7, v0
	v_add_f16_e32 v4, v0, v1
	v_sub_f16_e32 v0, v0, v1
	s_delay_alu instid0(VALU_DEP_4)
	v_add_f16_e32 v8, v2, v3
	v_sub_f16_e32 v5, v2, v3
	v_add_f16_e32 v2, v6, v2
	v_fma_f16 v4, -0.5, v4, v7
	v_add_f16_e32 v1, v9, v1
	v_fma_f16 v6, -0.5, v8, v6
	s_delay_alu instid0(VALU_DEP_4) | instskip(NEXT) | instid1(VALU_DEP_4)
	v_add_f16_e32 v2, v2, v3
	v_fmamk_f16 v3, v5, 0xbaee, v4
	v_fmac_f16_e32 v4, 0x3aee, v5
	s_delay_alu instid0(VALU_DEP_4) | instskip(SKIP_2) | instid1(VALU_DEP_3)
	v_fmamk_f16 v5, v0, 0x3aee, v6
	v_fmac_f16_e32 v6, 0xbaee, v0
	v_pack_b32_f16 v0, v2, v1
	v_pack_b32_f16 v2, v5, v3
	s_delay_alu instid0(VALU_DEP_3)
	v_pack_b32_f16 v1, v6, v4
	ds_store_b32 v39, v0 offset:2340
	ds_store_b32 v39, v1 offset:4940
	;; [unrolled: 1-line block ×3, first 2 shown]
.LBB0_21:
	s_wait_alu 0xfffe
	s_or_b32 exec_lo, exec_lo, s1
	global_wb scope:SCOPE_SE
	s_wait_dscnt 0x0
	s_barrier_signal -1
	s_barrier_wait -1
	global_inv scope:SCOPE_SE
	s_and_b32 exec_lo, exec_lo, vcc_lo
	s_cbranch_execz .LBB0_23
; %bb.22:
	s_clause 0x6
	global_load_b32 v0, v37, s[20:21]
	global_load_b32 v1, v37, s[20:21] offset:600
	global_load_b32 v7, v37, s[20:21] offset:1200
	;; [unrolled: 1-line block ×6, first 2 shown]
	v_add_nc_u32_e32 v4, 0x200, v37
	v_add_nc_u32_e32 v10, 0x600, v37
	;; [unrolled: 1-line block ×3, first 2 shown]
	ds_load_b32 v17, v39
	ds_load_2addr_b32 v[5:6], v4 offset0:22 offset1:172
	ds_load_2addr_b32 v[10:11], v10 offset0:66 offset1:216
	;; [unrolled: 1-line block ×3, first 2 shown]
	v_mad_co_u64_u32 v[8:9], null, s4, v38, 0
	v_mad_co_u64_u32 v[2:3], null, s6, v16, 0
	s_mov_b32 s24, 0xaa677344
	s_mov_b32 s25, 0x3f40cdd9
	s_mul_u64 s[22:23], s[4:5], 0x258
	s_delay_alu instid0(VALU_DEP_2) | instskip(NEXT) | instid1(VALU_DEP_1)
	v_mov_b32_e32 v4, v9
	v_mad_co_u64_u32 v[14:15], null, s7, v16, v[3:4]
	s_wait_dscnt 0x2
	v_mad_co_u64_u32 v[15:16], null, s5, v38, v[4:5]
	v_lshrrev_b32_e32 v16, 16, v17
	v_lshrrev_b32_e32 v18, 16, v6
	s_delay_alu instid0(VALU_DEP_4)
	v_mov_b32_e32 v3, v14
	v_lshrrev_b32_e32 v14, 16, v5
	s_wait_dscnt 0x1
	v_lshrrev_b32_e32 v25, 16, v10
	v_lshrrev_b32_e32 v26, 16, v11
	v_mov_b32_e32 v9, v15
	s_wait_dscnt 0x0
	v_lshrrev_b32_e32 v27, 16, v12
	v_lshrrev_b32_e32 v44, 16, v13
	v_lshlrev_b64_e32 v[2:3], 2, v[2:3]
	global_load_b32 v4, v37, s[20:21] offset:4200
	v_add_co_u32 v2, vcc_lo, s8, v2
	v_add_co_ci_u32_e32 v3, vcc_lo, s9, v3, vcc_lo
	s_wait_loadcnt 0x7
	v_lshrrev_b32_e32 v15, 16, v0
	s_wait_loadcnt 0x6
	v_lshrrev_b32_e32 v19, 16, v1
	;; [unrolled: 2-line block ×5, first 2 shown]
	v_mul_f16_e32 v30, v16, v15
	v_mul_f16_e32 v15, v17, v15
	;; [unrolled: 1-line block ×5, first 2 shown]
	v_fmac_f16_e32 v30, v17, v0
	v_fma_f16 v0, v0, v16, -v15
	v_fmac_f16_e32 v31, v5, v1
	v_fma_f16 v14, v1, v14, -v19
	v_mul_f16_e32 v20, v6, v20
	v_cvt_f32_f16_e32 v15, v30
	v_cvt_f32_f16_e32 v16, v0
	;; [unrolled: 1-line block ×3, first 2 shown]
	v_fmac_f16_e32 v32, v6, v7
	v_cvt_f32_f16_e32 v6, v14
	v_cvt_f64_f32_e32 v[0:1], v15
	v_cvt_f64_f32_e32 v[14:15], v16
	;; [unrolled: 1-line block ×3, first 2 shown]
	v_mul_f16_e32 v33, v25, v21
	v_fma_f16 v7, v7, v18, -v20
	v_cvt_f32_f16_e32 v20, v32
	v_cvt_f64_f32_e32 v[18:19], v6
	s_wait_loadcnt 0x2
	v_lshrrev_b32_e32 v29, 16, v24
	v_mul_f16_e32 v5, v10, v21
	v_mul_f16_e32 v30, v26, v28
	v_fmac_f16_e32 v33, v10, v22
	v_cvt_f32_f16_e32 v7, v7
	v_cvt_f64_f32_e32 v[20:21], v20
	v_mul_f16_e32 v6, v12, v29
	v_mul_f16_e32 v28, v11, v28
	v_cvt_f32_f16_e32 v32, v33
	v_fma_f16 v5, v22, v25, -v5
	v_fmac_f16_e32 v30, v11, v23
	v_cvt_f64_f32_e32 v[10:11], v7
	v_fma_f16 v6, v24, v27, -v6
	s_wait_loadcnt 0x1
	v_lshrrev_b32_e32 v45, 16, v36
	v_mul_f16_e32 v31, v27, v29
	v_fma_f16 v26, v23, v26, -v28
	v_cvt_f64_f32_e32 v[22:23], v32
	v_cvt_f32_f16_e32 v5, v5
	v_cvt_f32_f16_e32 v6, v6
	v_mul_f16_e32 v29, v44, v45
	v_fmac_f16_e32 v31, v12, v24
	v_cvt_f32_f16_e32 v7, v30
	v_cvt_f64_f32_e32 v[24:25], v5
	v_cvt_f64_f32_e32 v[32:33], v6
	v_fmac_f16_e32 v29, v13, v36
	v_cvt_f32_f16_e32 v5, v26
	v_cvt_f64_f32_e32 v[26:27], v7
	v_cvt_f32_f16_e32 v12, v31
	s_delay_alu instid0(VALU_DEP_4) | instskip(NEXT) | instid1(VALU_DEP_4)
	v_cvt_f32_f16_e32 v34, v29
	v_cvt_f64_f32_e32 v[28:29], v5
	v_mul_f64_e32 v[38:39], s[24:25], v[0:1]
	v_lshlrev_b64_e32 v[0:1], 2, v[8:9]
	v_mul_f64_e32 v[8:9], s[24:25], v[14:15]
	v_mul_f64_e32 v[14:15], s[24:25], v[16:17]
	v_cvt_f64_f32_e32 v[30:31], v12
	v_cvt_f64_f32_e32 v[34:35], v34
	v_mul_f64_e32 v[16:17], s[24:25], v[18:19]
	v_add_co_u32 v18, vcc_lo, v2, v0
	s_wait_alu 0xfffd
	v_add_co_ci_u32_e32 v19, vcc_lo, v3, v1, vcc_lo
	v_mul_f16_e32 v0, v13, v45
	v_mul_f64_e32 v[20:21], s[24:25], v[20:21]
	v_add_co_u32 v40, vcc_lo, v18, s22
	s_wait_alu 0xfffd
	v_add_co_ci_u32_e32 v41, vcc_lo, s23, v19, vcc_lo
	v_fma_f16 v36, v36, v44, -v0
	v_mul_f64_e32 v[10:11], s[24:25], v[10:11]
	v_add_co_u32 v42, vcc_lo, v40, s22
	s_wait_alu 0xfffd
	v_add_co_ci_u32_e32 v43, vcc_lo, s23, v41, vcc_lo
	v_mul_f64_e32 v[22:23], s[24:25], v[22:23]
	s_clause 0x2
	global_load_b32 v5, v37, s[20:21] offset:4800
	global_load_b32 v6, v37, s[20:21] offset:5400
	;; [unrolled: 1-line block ×3, first 2 shown]
	v_mul_f64_e32 v[12:13], s[24:25], v[24:25]
	v_mul_f64_e32 v[2:3], s[24:25], v[32:33]
	v_add_co_u32 v24, vcc_lo, v42, s22
	v_mul_f64_e32 v[26:27], s[24:25], v[26:27]
	s_wait_alu 0xfffd
	v_add_co_ci_u32_e32 v25, vcc_lo, s23, v43, vcc_lo
	v_mul_f64_e32 v[28:29], s[24:25], v[28:29]
	v_and_or_b32 v32, 0x1ff, v39, v38
	v_lshrrev_b32_e32 v33, 8, v39
	v_and_or_b32 v8, 0x1ff, v9, v8
	v_and_or_b32 v14, 0x1ff, v15, v14
	v_mul_f64_e32 v[30:31], s[24:25], v[30:31]
	v_cmp_ne_u32_e32 vcc_lo, 0, v32
	v_and_or_b32 v16, 0x1ff, v17, v16
	v_mul_f64_e32 v[0:1], s[24:25], v[34:35]
	v_bfe_u32 v34, v39, 20, 11
	v_lshrrev_b32_e32 v35, 16, v39
	s_wait_alu 0xfffd
	v_cndmask_b32_e64 v32, 0, 1, vcc_lo
	v_cmp_ne_u32_e32 vcc_lo, 0, v8
	v_and_or_b32 v20, 0x1ff, v21, v20
	v_lshrrev_b32_e32 v38, 8, v9
	v_bfe_u32 v39, v9, 20, 11
	v_and_or_b32 v32, 0xffe, v33, v32
	s_wait_alu 0xfffd
	v_cndmask_b32_e64 v8, 0, 1, vcc_lo
	v_cmp_ne_u32_e32 vcc_lo, 0, v14
	v_and_or_b32 v10, 0x1ff, v11, v10
	v_lshrrev_b32_e32 v44, 8, v15
	v_bfe_u32 v45, v15, 20, 11
	v_bfe_u32 v47, v17, 20, 11
	s_wait_alu 0xfffd
	v_cndmask_b32_e64 v14, 0, 1, vcc_lo
	v_cmp_ne_u32_e32 vcc_lo, 0, v16
	v_and_or_b32 v22, 0x1ff, v23, v22
	v_sub_nc_u32_e32 v62, 0x3f1, v34
	v_add_nc_u32_e32 v34, 0xfffffc10, v34
	v_sub_nc_u32_e32 v63, 0x3f1, v39
	s_wait_alu 0xfffd
	v_cndmask_b32_e64 v16, 0, 1, vcc_lo
	v_cmp_ne_u32_e32 vcc_lo, 0, v20
	v_and_or_b32 v12, 0x1ff, v13, v12
	v_and_or_b32 v8, 0xffe, v38, v8
	v_lshrrev_b32_e32 v46, 8, v17
	v_and_or_b32 v26, 0x1ff, v27, v26
	s_wait_alu 0xfffd
	v_cndmask_b32_e64 v20, 0, 1, vcc_lo
	v_cmp_ne_u32_e32 vcc_lo, 0, v10
	v_bfe_u32 v49, v21, 20, 11
	v_and_or_b32 v28, 0x1ff, v29, v28
	v_bfe_u32 v51, v11, 20, 11
	v_add_nc_u32_e32 v39, 0xfffffc10, v39
	s_wait_alu 0xfffd
	v_cndmask_b32_e64 v10, 0, 1, vcc_lo
	v_cmp_ne_u32_e32 vcc_lo, 0, v22
	v_and_or_b32 v30, 0x1ff, v31, v30
	v_sub_nc_u32_e32 v64, 0x3f1, v45
	v_sub_nc_u32_e32 v65, 0x3f1, v47
	v_med3_i32 v33, v62, 0, 13
	s_wait_alu 0xfffd
	v_cndmask_b32_e64 v22, 0, 1, vcc_lo
	v_cmp_ne_u32_e32 vcc_lo, 0, v12
	v_med3_i32 v38, v63, 0, 13
	v_and_or_b32 v14, 0xffe, v44, v14
	v_or_b32_e32 v62, 0x1000, v32
	v_lshl_or_b32 v63, v34, 12, v32
	s_wait_alu 0xfffd
	v_cndmask_b32_e64 v12, 0, 1, vcc_lo
	v_cmp_ne_u32_e32 vcc_lo, 0, v26
	v_lshrrev_b32_e32 v48, 8, v21
	v_lshrrev_b32_e32 v50, 8, v11
	v_bfe_u32 v53, v23, 20, 11
	v_bfe_u32 v55, v13, 20, 11
	s_wait_alu 0xfffd
	v_cndmask_b32_e64 v26, 0, 1, vcc_lo
	v_cmp_ne_u32_e32 vcc_lo, 0, v28
	v_sub_nc_u32_e32 v66, 0x3f1, v49
	v_sub_nc_u32_e32 v67, 0x3f1, v51
	v_med3_i32 v44, v64, 0, 13
	v_and_or_b32 v16, 0xffe, v46, v16
	s_wait_alu 0xfffd
	v_cndmask_b32_e64 v28, 0, 1, vcc_lo
	v_cmp_ne_u32_e32 vcc_lo, 0, v30
	v_med3_i32 v46, v65, 0, 13
	v_or_b32_e32 v64, 0x1000, v8
	v_lshl_or_b32 v65, v39, 12, v8
	v_add_nc_u32_e32 v45, 0xfffffc10, v45
	s_wait_alu 0xfffd
	v_cndmask_b32_e64 v30, 0, 1, vcc_lo
	v_cmp_ne_u32_e32 vcc_lo, 0, v32
	v_lshrrev_b32_e32 v52, 8, v23
	v_lshrrev_b32_e32 v54, 8, v13
	v_bfe_u32 v57, v27, 20, 11
	v_bfe_u32 v59, v29, 20, 11
	s_wait_alu 0xfffd
	v_cndmask_b32_e64 v32, 0, 1, vcc_lo
	v_cmp_ne_u32_e32 vcc_lo, 0, v8
	v_sub_nc_u32_e32 v68, 0x3f1, v53
	v_sub_nc_u32_e32 v69, 0x3f1, v55
	v_and_or_b32 v20, 0xffe, v48, v20
	v_med3_i32 v48, v66, 0, 13
	s_wait_alu 0xfffd
	v_cndmask_b32_e64 v8, 0, 1, vcc_lo
	v_cmp_ne_u32_e32 vcc_lo, 0, v14
	v_and_or_b32 v10, 0xffe, v50, v10
	v_med3_i32 v50, v67, 0, 13
	v_or_b32_e32 v66, 0x1000, v14
	v_lshl_or_b32 v67, v45, 12, v14
	v_add_nc_u32_e32 v47, 0xfffffc10, v47
	s_wait_alu 0xfffd
	v_cndmask_b32_e64 v14, 0, 1, vcc_lo
	v_cmp_ne_u32_e32 vcc_lo, 0, v16
	v_lshrrev_b32_e32 v56, 8, v27
	v_lshrrev_b32_e32 v58, 8, v29
	v_bfe_u32 v61, v31, 20, 11
	v_sub_nc_u32_e32 v70, 0x3f1, v57
	v_sub_nc_u32_e32 v71, 0x3f1, v59
	v_and_or_b32 v22, 0xffe, v52, v22
	v_med3_i32 v52, v68, 0, 13
	v_and_or_b32 v12, 0xffe, v54, v12
	v_med3_i32 v54, v69, 0, 13
	v_or_b32_e32 v68, 0x1000, v16
	v_lshl_or_b32 v69, v47, 12, v16
	v_add_nc_u32_e32 v49, 0xfffffc10, v49
	s_wait_alu 0xfffd
	v_cndmask_b32_e64 v16, 0, 1, vcc_lo
	v_cmp_ne_u32_e32 vcc_lo, 0, v20
	v_lshrrev_b32_e32 v60, 8, v31
	v_sub_nc_u32_e32 v72, 0x3f1, v61
	v_and_or_b32 v26, 0xffe, v56, v26
	v_med3_i32 v56, v70, 0, 13
	v_and_or_b32 v28, 0xffe, v58, v28
	v_med3_i32 v58, v71, 0, 13
	v_or_b32_e32 v70, 0x1000, v20
	v_lshl_or_b32 v71, v49, 12, v20
	v_add_nc_u32_e32 v51, 0xfffffc10, v51
	s_wait_alu 0xfffd
	v_cndmask_b32_e64 v20, 0, 1, vcc_lo
	v_cmp_ne_u32_e32 vcc_lo, 0, v10
	v_and_or_b32 v30, 0xffe, v60, v30
	v_med3_i32 v60, v72, 0, 13
	v_or_b32_e32 v72, 0x1000, v10
	v_lshl_or_b32 v73, v51, 12, v10
	v_add_nc_u32_e32 v53, 0xfffffc10, v53
	s_wait_alu 0xfffd
	v_cndmask_b32_e64 v10, 0, 1, vcc_lo
	v_cmp_ne_u32_e32 vcc_lo, 0, v22
	v_or_b32_e32 v74, 0x1000, v22
	v_or_b32_e32 v76, 0x1000, v12
	v_lshl_or_b32 v75, v53, 12, v22
	v_add_nc_u32_e32 v55, 0xfffffc10, v55
	s_wait_alu 0xfffd
	v_cndmask_b32_e64 v22, 0, 1, vcc_lo
	v_cmp_ne_u32_e32 vcc_lo, 0, v12
	v_lshrrev_b32_e32 v83, v33, v62
	v_or_b32_e32 v78, 0x1000, v26
	v_lshl_or_b32 v77, v55, 12, v12
	v_add_nc_u32_e32 v57, 0xfffffc10, v57
	s_wait_alu 0xfffd
	v_cndmask_b32_e64 v12, 0, 1, vcc_lo
	v_cmp_ne_u32_e32 vcc_lo, 0, v26
	v_lshrrev_b32_e32 v84, v38, v64
	v_lshlrev_b32_e32 v33, v33, v83
	v_lshl_or_b32 v79, v57, 12, v26
	v_add_nc_u32_e32 v59, 0xfffffc10, v59
	s_wait_alu 0xfffd
	v_cndmask_b32_e64 v26, 0, 1, vcc_lo
	v_cmp_ne_u32_e32 vcc_lo, 0, v28
	v_or_b32_e32 v80, 0x1000, v28
	v_lshrrev_b32_e32 v85, v44, v66
	v_lshl_or_b32 v81, v59, 12, v28
	v_lshlrev_b32_e32 v38, v38, v84
	s_wait_alu 0xfffd
	v_cndmask_b32_e64 v28, 0, 1, vcc_lo
	v_cmp_ne_u32_e32 vcc_lo, v33, v62
	v_lshrrev_b32_e32 v86, v46, v68
	v_lshlrev_b32_e32 v44, v44, v85
	v_lshrrev_b32_e32 v87, v48, v70
	v_lshrrev_b32_e32 v88, v50, v72
	s_wait_alu 0xfffd
	v_cndmask_b32_e64 v33, 0, 1, vcc_lo
	v_cmp_ne_u32_e32 vcc_lo, v38, v64
	v_lshlrev_b32_e32 v46, v46, v86
	v_lshlrev_b32_e32 v48, v48, v87
	v_lshrrev_b32_e32 v89, v52, v74
	v_lshlrev_b32_e32 v50, v50, v88
	s_wait_alu 0xfffd
	v_cndmask_b32_e64 v38, 0, 1, vcc_lo
	v_cmp_ne_u32_e32 vcc_lo, v44, v66
	v_lshrrev_b32_e32 v90, v54, v76
	v_lshlrev_b32_e32 v52, v52, v89
	v_lshrrev_b32_e32 v91, v56, v78
	v_or_b32_e32 v82, 0x1000, v30
	s_wait_alu 0xfffd
	v_cndmask_b32_e64 v44, 0, 1, vcc_lo
	v_cmp_ne_u32_e32 vcc_lo, v46, v68
	v_lshlrev_b32_e32 v54, v54, v90
	v_lshrrev_b32_e32 v92, v58, v80
	v_lshlrev_b32_e32 v56, v56, v91
	v_lshrrev_b32_e32 v93, v60, v82
	s_wait_alu 0xfffd
	v_cndmask_b32_e64 v46, 0, 1, vcc_lo
	v_cmp_ne_u32_e32 vcc_lo, v48, v70
	v_lshlrev_b32_e32 v58, v58, v92
	v_or_b32_e32 v33, v83, v33
	v_lshlrev_b32_e32 v60, v60, v93
	v_or_b32_e32 v38, v84, v38
	s_wait_alu 0xfffd
	v_cndmask_b32_e64 v48, 0, 1, vcc_lo
	v_cmp_ne_u32_e32 vcc_lo, v50, v72
	v_or_b32_e32 v44, v85, v44
	v_or_b32_e32 v46, v86, v46
	v_lshl_or_b32 v32, v32, 9, 0x7c00
	v_or_b32_e32 v48, v87, v48
	s_wait_alu 0xfffd
	v_cndmask_b32_e64 v50, 0, 1, vcc_lo
	v_cmp_ne_u32_e32 vcc_lo, v52, v74
	v_lshl_or_b32 v8, v8, 9, 0x7c00
	v_lshl_or_b32 v14, v14, 9, 0x7c00
	;; [unrolled: 1-line block ×3, first 2 shown]
	v_or_b32_e32 v50, v88, v50
	s_wait_alu 0xfffd
	v_cndmask_b32_e64 v52, 0, 1, vcc_lo
	v_cmp_ne_u32_e32 vcc_lo, v54, v76
	v_lshl_or_b32 v20, v20, 9, 0x7c00
	v_lshl_or_b32 v10, v10, 9, 0x7c00
	;; [unrolled: 1-line block ×3, first 2 shown]
	v_or_b32_e32 v52, v89, v52
	s_wait_alu 0xfffd
	v_cndmask_b32_e64 v54, 0, 1, vcc_lo
	v_cmp_ne_u32_e32 vcc_lo, v56, v78
	v_lshrrev_b32_e32 v11, 16, v11
	v_lshrrev_b32_e32 v23, 16, v23
	v_lshl_or_b32 v12, v12, 9, 0x7c00
	v_or_b32_e32 v54, v90, v54
	s_wait_alu 0xfffd
	v_cndmask_b32_e64 v56, 0, 1, vcc_lo
	v_cmp_ne_u32_e32 vcc_lo, v58, v80
	v_lshrrev_b32_e32 v9, 16, v9
	v_lshrrev_b32_e32 v15, 16, v15
	;; [unrolled: 1-line block ×3, first 2 shown]
	v_or_b32_e32 v56, v91, v56
	s_wait_alu 0xfffd
	v_cndmask_b32_e64 v58, 0, 1, vcc_lo
	v_cmp_ne_u32_e32 vcc_lo, v60, v82
	v_lshrrev_b32_e32 v13, 16, v13
	v_lshrrev_b32_e32 v17, 16, v17
	v_lshl_or_b32 v26, v26, 9, 0x7c00
	v_or_b32_e32 v58, v92, v58
	s_wait_alu 0xfffd
	v_cndmask_b32_e64 v60, 0, 1, vcc_lo
	v_cmp_gt_i32_e32 vcc_lo, 1, v34
	v_lshl_or_b32 v28, v28, 9, 0x7c00
	v_and_or_b32 v2, 0x1ff, v3, v2
	v_lshrrev_b32_e32 v27, 16, v27
	v_or_b32_e32 v60, v93, v60
	s_wait_alu 0xfffd
	v_cndmask_b32_e32 v33, v63, v33, vcc_lo
	v_cmp_gt_i32_e32 vcc_lo, 1, v39
	v_lshrrev_b32_e32 v29, 16, v29
	v_and_or_b32 v0, 0x1ff, v1, v0
	s_delay_alu instid0(VALU_DEP_4)
	v_and_b32_e32 v62, 7, v33
	s_wait_alu 0xfffd
	v_cndmask_b32_e32 v38, v65, v38, vcc_lo
	v_cmp_gt_i32_e32 vcc_lo, 1, v45
	v_lshrrev_b32_e32 v33, 2, v33
	v_cmp_eq_u32_e64 s0, 3, v62
	s_wait_alu 0xfffd
	v_dual_cndmask_b32 v44, v67, v44 :: v_dual_and_b32 v63, 7, v38
	v_cmp_gt_i32_e32 vcc_lo, 1, v47
	v_lshrrev_b32_e32 v38, 2, v38
	s_delay_alu instid0(VALU_DEP_3) | instskip(NEXT) | instid1(VALU_DEP_4)
	v_cmp_lt_i32_e64 s1, 5, v63
	v_and_b32_e32 v64, 7, v44
	s_wait_alu 0xfffd
	v_cndmask_b32_e32 v46, v69, v46, vcc_lo
	v_cmp_gt_i32_e32 vcc_lo, 1, v49
	v_cmp_eq_u32_e64 s2, 3, v63
	v_lshrrev_b32_e32 v44, 2, v44
	v_cmp_lt_i32_e64 s3, 5, v64
	s_wait_alu 0xfffd
	v_dual_cndmask_b32 v48, v71, v48 :: v_dual_and_b32 v65, 7, v46
	v_cmp_gt_i32_e32 vcc_lo, 1, v51
	v_cmp_eq_u32_e64 s4, 3, v64
	v_lshrrev_b32_e32 v46, 2, v46
	s_delay_alu instid0(VALU_DEP_4)
	v_cmp_lt_i32_e64 s5, 5, v65
	v_and_b32_e32 v66, 7, v48
	s_wait_alu 0xfffd
	v_cndmask_b32_e32 v50, v73, v50, vcc_lo
	v_cmp_gt_i32_e32 vcc_lo, 1, v53
	v_cmp_eq_u32_e64 s6, 3, v65
	v_lshrrev_b32_e32 v48, 2, v48
	v_cmp_lt_i32_e64 s7, 5, v66
	s_wait_alu 0xfffd
	v_dual_cndmask_b32 v52, v75, v52 :: v_dual_and_b32 v67, 7, v50
	v_cmp_gt_i32_e32 vcc_lo, 1, v55
	v_cmp_eq_u32_e64 s8, 3, v66
	v_lshrrev_b32_e32 v50, 2, v50
	s_delay_alu instid0(VALU_DEP_4)
	v_cmp_lt_i32_e64 s9, 5, v67
	v_and_b32_e32 v68, 7, v52
	s_wait_alu 0xfffd
	v_cndmask_b32_e32 v54, v77, v54, vcc_lo
	v_cmp_gt_i32_e32 vcc_lo, 1, v57
	v_cmp_eq_u32_e64 s10, 3, v67
	v_lshrrev_b32_e32 v52, 2, v52
	v_cmp_lt_i32_e64 s11, 5, v68
	s_wait_alu 0xfffd
	v_dual_cndmask_b32 v56, v79, v56 :: v_dual_and_b32 v69, 7, v54
	v_cmp_gt_i32_e32 vcc_lo, 1, v59
	v_add_nc_u32_e32 v61, 0xfffffc10, v61
	v_cmp_eq_u32_e64 s12, 3, v68
	s_delay_alu instid0(VALU_DEP_4)
	v_cmp_lt_i32_e64 s13, 5, v69
	v_and_b32_e32 v70, 7, v56
	s_wait_alu 0xfffd
	v_cndmask_b32_e32 v58, v81, v58, vcc_lo
	v_cmp_lt_i32_e32 vcc_lo, 5, v62
	v_cmp_eq_u32_e64 s14, 3, v69
	v_lshrrev_b32_e32 v54, 2, v54
	v_cmp_lt_i32_e64 s15, 5, v70
	v_and_b32_e32 v71, 7, v58
	s_or_b32 vcc_lo, s0, vcc_lo
	v_cmp_eq_u32_e64 s16, 3, v70
	s_wait_alu 0xfffe
	v_add_co_ci_u32_e32 v33, vcc_lo, 0, v33, vcc_lo
	s_or_b32 vcc_lo, s2, s1
	v_lshrrev_b32_e32 v56, 2, v56
	s_wait_alu 0xfffe
	v_add_co_ci_u32_e32 v38, vcc_lo, 0, v38, vcc_lo
	s_or_b32 vcc_lo, s4, s3
	v_cmp_lt_i32_e64 s17, 5, v71
	s_wait_alu 0xfffe
	v_add_co_ci_u32_e32 v44, vcc_lo, 0, v44, vcc_lo
	s_or_b32 vcc_lo, s6, s5
	v_cmp_eq_u32_e64 s18, 3, v71
	s_wait_alu 0xfffe
	v_add_co_ci_u32_e32 v46, vcc_lo, 0, v46, vcc_lo
	s_or_b32 vcc_lo, s8, s7
	v_lshrrev_b32_e32 v58, 2, v58
	s_wait_alu 0xfffe
	v_add_co_ci_u32_e32 v48, vcc_lo, 0, v48, vcc_lo
	s_or_b32 vcc_lo, s10, s9
	s_wait_alu 0xfffe
	v_add_co_ci_u32_e32 v50, vcc_lo, 0, v50, vcc_lo
	s_or_b32 vcc_lo, s12, s11
	;; [unrolled: 3-line block ×5, first 2 shown]
	s_wait_alu 0xfffe
	v_add_co_ci_u32_e32 v58, vcc_lo, 0, v58, vcc_lo
	v_cmp_gt_i32_e32 vcc_lo, 31, v34
	s_wait_alu 0xfffd
	v_cndmask_b32_e32 v33, 0x7c00, v33, vcc_lo
	v_cmp_gt_i32_e32 vcc_lo, 31, v39
	s_wait_alu 0xfffd
	v_cndmask_b32_e32 v38, 0x7c00, v38, vcc_lo
	;; [unrolled: 3-line block ×10, first 2 shown]
	v_cmp_eq_u32_e32 vcc_lo, 0x40f, v34
	s_wait_alu 0xfffd
	v_cndmask_b32_e32 v32, v33, v32, vcc_lo
	v_cmp_eq_u32_e32 vcc_lo, 0x40f, v39
	s_delay_alu instid0(VALU_DEP_2) | instskip(SKIP_3) | instid1(VALU_DEP_2)
	v_and_or_b32 v32, 0x8000, v35, v32
	s_wait_alu 0xfffd
	v_cndmask_b32_e32 v8, v38, v8, vcc_lo
	v_cmp_eq_u32_e32 vcc_lo, 0x40f, v45
	v_and_or_b32 v8, 0x8000, v9, v8
	s_wait_alu 0xfffd
	v_cndmask_b32_e32 v14, v44, v14, vcc_lo
	v_cmp_eq_u32_e32 vcc_lo, 0x40f, v47
	s_wait_alu 0xfffd
	v_cndmask_b32_e32 v16, v46, v16, vcc_lo
	v_cmp_eq_u32_e32 vcc_lo, 0x40f, v49
	;; [unrolled: 3-line block ×4, first 2 shown]
	s_delay_alu instid0(VALU_DEP_2) | instskip(SKIP_3) | instid1(VALU_DEP_2)
	v_and_or_b32 v10, 0x8000, v11, v10
	s_wait_alu 0xfffd
	v_cndmask_b32_e32 v22, v52, v22, vcc_lo
	v_cmp_eq_u32_e32 vcc_lo, 0x40f, v55
	v_and_or_b32 v11, 0x8000, v23, v22
	s_wait_alu 0xfffd
	v_cndmask_b32_e32 v12, v54, v12, vcc_lo
	v_cmp_eq_u32_e32 vcc_lo, 0x40f, v57
	s_delay_alu instid0(VALU_DEP_3) | instskip(NEXT) | instid1(VALU_DEP_3)
	v_and_b32_e32 v11, 0xffff, v11
	v_and_or_b32 v12, 0x8000, v13, v12
	v_and_b32_e32 v13, 0xffff, v32
	v_and_or_b32 v9, 0x8000, v15, v14
	v_and_or_b32 v15, 0x8000, v21, v20
	s_wait_alu 0xfffd
	v_cndmask_b32_e32 v26, v56, v26, vcc_lo
	v_cmp_eq_u32_e32 vcc_lo, 0x40f, v59
	v_lshl_or_b32 v8, v8, 16, v13
	v_and_b32_e32 v9, 0xffff, v9
	v_and_b32_e32 v15, 0xffff, v15
	v_and_or_b32 v14, 0x8000, v17, v16
	v_lshl_or_b32 v11, v12, 16, v11
	s_wait_alu 0xfffd
	v_cndmask_b32_e32 v16, v58, v28, vcc_lo
	v_cmp_gt_i32_e32 vcc_lo, 1, v61
	v_lshl_or_b32 v10, v10, 16, v15
	v_lshl_or_b32 v9, v14, 16, v9
	s_clause 0x3
	global_store_b32 v[18:19], v8, off
	global_store_b32 v[40:41], v9, off
	;; [unrolled: 1-line block ×4, first 2 shown]
	v_lshl_or_b32 v8, v61, 12, v30
	v_cvt_f32_f16_e32 v9, v36
	v_add_nc_u32_e32 v10, 0x1000, v37
	v_lshrrev_b32_e32 v14, 8, v3
	v_bfe_u32 v15, v3, 20, 11
	s_wait_alu 0xfffd
	v_cndmask_b32_e32 v13, v8, v60, vcc_lo
	v_cvt_f64_f32_e32 v[8:9], v9
	v_cmp_ne_u32_e32 vcc_lo, 0, v2
	ds_load_2addr_b32 v[10:11], v10 offset0:26 offset1:176
	v_and_or_b32 v12, 0x8000, v27, v26
	v_and_b32_e32 v17, 7, v13
	v_lshrrev_b32_e32 v13, 2, v13
	s_wait_alu 0xfffd
	v_cndmask_b32_e64 v2, 0, 1, vcc_lo
	v_and_or_b32 v16, 0x8000, v29, v16
	v_and_b32_e32 v12, 0xffff, v12
	v_cmp_lt_i32_e32 vcc_lo, 5, v17
	v_cmp_eq_u32_e64 s0, 3, v17
	v_and_or_b32 v2, 0xffe, v14, v2
	v_sub_nc_u32_e32 v14, 0x3f1, v15
	v_lshl_or_b32 v16, v16, 16, v12
	s_wait_loadcnt 0x3
	v_lshrrev_b32_e32 v21, 16, v4
	s_or_b32 vcc_lo, s0, vcc_lo
	v_or_b32_e32 v17, 0x1000, v2
	v_med3_i32 v14, v14, 0, 13
	s_wait_alu 0xfffe
	v_add_co_ci_u32_e32 v18, vcc_lo, 0, v13, vcc_lo
	v_add_co_u32 v12, vcc_lo, v24, s22
	s_wait_alu 0xfffd
	v_add_co_ci_u32_e32 v13, vcc_lo, s23, v25, vcc_lo
	v_lshrrev_b32_e32 v19, v14, v17
	v_cmp_gt_i32_e32 vcc_lo, 31, v61
	s_wait_dscnt 0x0
	v_lshrrev_b32_e32 v20, 16, v10
	v_bfe_u32 v24, v1, 20, 11
	v_add_nc_u32_e32 v26, 0xfffffc10, v15
	v_lshlrev_b32_e32 v14, v14, v19
	s_wait_alu 0xfffd
	v_cndmask_b32_e32 v18, 0x7c00, v18, vcc_lo
	v_cmp_ne_u32_e32 vcc_lo, 0, v30
	v_mul_f16_e32 v22, v20, v21
	global_load_b32 v25, v37, s[20:21] offset:6600
	global_store_b32 v[12:13], v16, off
	v_lshrrev_b32_e32 v3, 16, v3
	s_wait_alu 0xfffd
	v_cndmask_b32_e64 v23, 0, 1, vcc_lo
	v_cmp_ne_u32_e32 vcc_lo, v14, v17
	v_fmac_f16_e32 v22, v10, v4
	v_mul_f64_e32 v[8:9], s[24:25], v[8:9]
	v_mul_f16_e32 v10, v10, v21
	v_lshl_or_b32 v23, v23, 9, 0x7c00
	s_wait_alu 0xfffd
	v_cndmask_b32_e64 v17, 0, 1, vcc_lo
	v_cmp_ne_u32_e32 vcc_lo, 0, v0
	v_cvt_f32_f16_e32 v14, v22
	v_lshrrev_b32_e32 v22, 8, v1
	v_fma_f16 v4, v4, v20, -v10
	v_or_b32_e32 v17, v19, v17
	s_wait_alu 0xfffd
	v_cndmask_b32_e64 v0, 0, 1, vcc_lo
	v_cvt_f64_f32_e32 v[14:15], v14
	v_lshl_or_b32 v19, v26, 12, v2
	v_cmp_gt_i32_e32 vcc_lo, 1, v26
	v_cvt_f32_f16_e32 v4, v4
	v_and_or_b32 v0, 0xffe, v22, v0
	v_sub_nc_u32_e32 v22, 0x3f1, v24
	s_wait_alu 0xfffd
	v_cndmask_b32_e32 v17, v19, v17, vcc_lo
	v_cmp_eq_u32_e32 vcc_lo, 0x40f, v61
	v_or_b32_e32 v27, 0x1000, v0
	v_med3_i32 v22, v22, 0, 13
	v_lshrrev_b32_e32 v19, 16, v31
	v_and_b32_e32 v28, 7, v17
	s_wait_alu 0xfffd
	v_cndmask_b32_e32 v18, v18, v23, vcc_lo
	v_lshrrev_b32_e32 v10, 2, v17
	v_lshrrev_b32_e32 v23, v22, v27
	v_cmp_lt_i32_e32 vcc_lo, 5, v28
	v_cmp_eq_u32_e64 s0, 3, v28
	v_and_or_b32 v18, 0x8000, v19, v18
	s_delay_alu instid0(VALU_DEP_4) | instskip(SKIP_1) | instid1(VALU_DEP_4)
	v_lshlrev_b32_e32 v16, v22, v23
	v_add_nc_u32_e32 v19, 0xfffffc10, v24
	s_or_b32 vcc_lo, s0, vcc_lo
	s_delay_alu instid0(VALU_DEP_3) | instskip(NEXT) | instid1(VALU_DEP_3)
	v_and_b32_e32 v18, 0xffff, v18
	v_cmp_ne_u32_e64 s1, v16, v27
	s_wait_alu 0xfffe
	v_add_co_ci_u32_e32 v10, vcc_lo, 0, v10, vcc_lo
	v_cmp_ne_u32_e32 vcc_lo, 0, v2
	v_lshl_or_b32 v21, v19, 12, v0
	s_wait_alu 0xf1ff
	v_cndmask_b32_e64 v16, 0, 1, s1
	v_and_or_b32 v8, 0x1ff, v9, v8
	v_cmp_eq_u32_e64 s1, 0x40f, v26
	s_wait_alu 0xfffd
	v_cndmask_b32_e64 v2, 0, 1, vcc_lo
	v_cmp_gt_i32_e32 vcc_lo, 1, v19
	v_or_b32_e32 v20, v23, v16
	v_cvt_f64_f32_e32 v[16:17], v4
	v_mul_f64_e32 v[14:15], s[24:25], v[14:15]
	v_lshl_or_b32 v2, v2, 9, 0x7c00
	s_wait_alu 0xfffd
	v_cndmask_b32_e32 v4, v21, v20, vcc_lo
	v_cmp_ne_u32_e32 vcc_lo, 0, v8
	v_lshrrev_b32_e32 v20, 8, v9
	v_bfe_u32 v21, v9, 20, 11
	s_delay_alu instid0(VALU_DEP_4)
	v_and_b32_e32 v22, 7, v4
	s_wait_alu 0xfffd
	v_cndmask_b32_e64 v8, 0, 1, vcc_lo
	v_cmp_gt_i32_e32 vcc_lo, 31, v26
	v_lshrrev_b32_e32 v4, 2, v4
	v_cmp_eq_u32_e64 s0, 3, v22
	s_delay_alu instid0(VALU_DEP_4)
	v_and_or_b32 v8, 0xffe, v20, v8
	v_sub_nc_u32_e32 v20, 0x3f1, v21
	s_wait_alu 0xfffd
	v_cndmask_b32_e32 v10, 0x7c00, v10, vcc_lo
	v_cmp_lt_i32_e32 vcc_lo, 5, v22
	v_add_nc_u32_e32 v21, 0xfffffc10, v21
	v_or_b32_e32 v22, 0x1000, v8
	v_med3_i32 v20, v20, 0, 13
	s_wait_alu 0xf1ff
	v_cndmask_b32_e64 v2, v10, v2, s1
	s_or_b32 vcc_lo, s0, vcc_lo
	s_wait_alu 0xfffe
	v_add_co_ci_u32_e32 v4, vcc_lo, 0, v4, vcc_lo
	v_lshrrev_b32_e32 v10, v20, v22
	v_cmp_gt_i32_e32 vcc_lo, 31, v19
	v_and_or_b32 v23, 0x8000, v3, v2
	s_delay_alu instid0(VALU_DEP_3)
	v_lshlrev_b32_e32 v2, v20, v10
	s_wait_alu 0xfffd
	v_cndmask_b32_e32 v4, 0x7c00, v4, vcc_lo
	v_cmp_ne_u32_e32 vcc_lo, 0, v0
	v_lshl_or_b32 v18, v23, 16, v18
	s_wait_alu 0xfffd
	v_cndmask_b32_e64 v0, 0, 1, vcc_lo
	v_cmp_ne_u32_e32 vcc_lo, v2, v22
	v_mul_f64_e32 v[2:3], s[24:25], v[16:17]
	v_lshrrev_b32_e32 v16, 16, v11
	s_wait_loadcnt 0x3
	v_lshrrev_b32_e32 v17, 16, v5
	v_and_or_b32 v14, 0x1ff, v15, v14
	s_wait_alu 0xfffd
	v_cndmask_b32_e64 v20, 0, 1, vcc_lo
	v_cmp_gt_i32_e32 vcc_lo, 1, v21
	v_lshl_or_b32 v0, v0, 9, 0x7c00
	v_mul_f16_e32 v22, v16, v17
	v_bfe_u32 v24, v15, 20, 11
	v_or_b32_e32 v10, v10, v20
	v_lshl_or_b32 v20, v21, 12, v8
	s_delay_alu instid0(VALU_DEP_4) | instskip(SKIP_2) | instid1(VALU_DEP_3)
	v_fmac_f16_e32 v22, v11, v5
	v_mul_f16_e32 v11, v11, v17
	s_wait_alu 0xfffd
	v_cndmask_b32_e32 v10, v20, v10, vcc_lo
	v_cmp_ne_u32_e32 vcc_lo, 0, v14
	v_lshrrev_b32_e32 v20, 8, v15
	v_fma_f16 v5, v5, v16, -v11
	s_wait_alu 0xfffd
	v_cndmask_b32_e64 v14, 0, 1, vcc_lo
	v_cmp_eq_u32_e32 vcc_lo, 0x40f, v19
	v_and_b32_e32 v19, 7, v10
	v_lshrrev_b32_e32 v10, 2, v10
	s_delay_alu instid0(VALU_DEP_4)
	v_and_or_b32 v14, 0xffe, v20, v14
	s_wait_alu 0xfffd
	v_cndmask_b32_e32 v4, v4, v0, vcc_lo
	v_cvt_f32_f16_e32 v0, v22
	v_sub_nc_u32_e32 v20, 0x3f1, v24
	v_cmp_lt_i32_e32 vcc_lo, 5, v19
	v_cmp_eq_u32_e64 s0, 3, v19
	v_lshrrev_b32_e32 v22, 16, v1
	v_cvt_f64_f32_e32 v[0:1], v0
	v_or_b32_e32 v26, 0x1000, v14
	v_med3_i32 v20, v20, 0, 13
	s_or_b32 vcc_lo, s0, vcc_lo
	v_and_or_b32 v19, 0x8000, v22, v4
	s_wait_alu 0xfffe
	v_add_co_ci_u32_e32 v10, vcc_lo, 0, v10, vcc_lo
	v_lshrrev_b32_e32 v4, v20, v26
	v_cmp_ne_u32_e32 vcc_lo, 0, v8
	v_and_or_b32 v2, 0x1ff, v3, v2
	v_add_nc_u32_e32 v22, 0xfffffc10, v24
	v_bfe_u32 v23, v3, 20, 11
	v_lshlrev_b32_e32 v20, v20, v4
	s_wait_alu 0xfffd
	v_cndmask_b32_e64 v8, 0, 1, vcc_lo
	v_cmp_gt_i32_e32 vcc_lo, 31, v21
	v_lshrrev_b32_e32 v17, 8, v3
	v_sub_nc_u32_e32 v11, 0x3f1, v23
	v_lshrrev_b32_e32 v24, 16, v9
	v_lshl_or_b32 v8, v8, 9, 0x7c00
	s_wait_alu 0xfffd
	v_cndmask_b32_e32 v10, 0x7c00, v10, vcc_lo
	v_cmp_ne_u32_e32 vcc_lo, v20, v26
	v_and_b32_e32 v19, 0xffff, v19
	s_wait_alu 0xfffd
	v_cndmask_b32_e64 v20, 0, 1, vcc_lo
	v_cmp_ne_u32_e32 vcc_lo, 0, v2
	s_delay_alu instid0(VALU_DEP_2) | instskip(SKIP_4) | instid1(VALU_DEP_3)
	v_or_b32_e32 v4, v4, v20
	s_wait_alu 0xfffd
	v_cndmask_b32_e64 v2, 0, 1, vcc_lo
	v_lshl_or_b32 v20, v22, 12, v14
	v_cmp_gt_i32_e32 vcc_lo, 1, v22
	v_and_or_b32 v2, 0xffe, v17, v2
	s_wait_alu 0xfffd
	s_delay_alu instid0(VALU_DEP_3)
	v_cndmask_b32_e32 v16, v20, v4, vcc_lo
	v_cvt_f32_f16_e32 v4, v5
	v_med3_i32 v20, v11, 0, 13
	v_add_nc_u32_e32 v11, 0x1400, v37
	v_cmp_eq_u32_e32 vcc_lo, 0x40f, v21
	v_mul_f64_e32 v[0:1], s[24:25], v[0:1]
	v_cvt_f64_f32_e32 v[4:5], v4
	v_or_b32_e32 v17, 0x1000, v2
	v_and_b32_e32 v26, 7, v16
	s_wait_alu 0xfffd
	v_cndmask_b32_e32 v21, v10, v8, vcc_lo
	ds_load_2addr_b32 v[10:11], v11 offset0:70 offset1:220
	v_add_co_u32 v8, vcc_lo, v12, s22
	v_lshrrev_b32_e32 v27, v20, v17
	s_wait_alu 0xfffd
	v_add_co_ci_u32_e32 v9, vcc_lo, s23, v13, vcc_lo
	v_cmp_lt_i32_e32 vcc_lo, 5, v26
	v_cmp_eq_u32_e64 s0, 3, v26
	v_lshlrev_b32_e32 v12, v20, v27
	v_lshrrev_b32_e32 v13, 2, v16
	v_add_nc_u32_e32 v16, 0xfffffc10, v23
	s_wait_loadcnt 0x2
	v_lshrrev_b32_e32 v20, 16, v6
	s_or_b32 vcc_lo, s0, vcc_lo
	v_cmp_ne_u32_e64 s1, v12, v17
	s_wait_alu 0xfffe
	v_add_co_ci_u32_e32 v13, vcc_lo, 0, v13, vcc_lo
	v_cmp_ne_u32_e32 vcc_lo, 0, v14
	v_and_or_b32 v21, 0x8000, v24, v21
	s_wait_alu 0xf1ff
	v_cndmask_b32_e64 v12, 0, 1, s1
	v_lshl_or_b32 v23, v16, 12, v2
	s_wait_dscnt 0x0
	v_lshrrev_b32_e32 v17, 16, v10
	s_wait_alu 0xfffd
	v_cndmask_b32_e64 v14, 0, 1, vcc_lo
	v_cmp_gt_i32_e32 vcc_lo, 1, v16
	v_or_b32_e32 v12, v27, v12
	v_lshl_or_b32 v19, v21, 16, v19
	v_mul_f16_e32 v24, v17, v20
	s_wait_alu 0xfffd
	s_delay_alu instid0(VALU_DEP_3) | instskip(SKIP_1) | instid1(VALU_DEP_3)
	v_cndmask_b32_e32 v23, v23, v12, vcc_lo
	v_cmp_gt_i32_e32 vcc_lo, 31, v22
	v_fmac_f16_e32 v24, v10, v6
	v_mul_f16_e32 v10, v10, v20
	v_and_or_b32 v0, 0x1ff, v1, v0
	v_mul_f64_e32 v[4:5], s[24:25], v[4:5]
	s_wait_alu 0xfffd
	v_cndmask_b32_e32 v12, 0x7c00, v13, vcc_lo
	v_lshl_or_b32 v13, v14, 9, 0x7c00
	v_cvt_f32_f16_e32 v24, v24
	v_cmp_eq_u32_e32 vcc_lo, 0x40f, v22
	v_and_b32_e32 v14, 7, v23
	v_cmp_ne_u32_e64 s0, 0, v0
	v_bfe_u32 v26, v1, 20, 11
	v_fma_f16 v6, v6, v17, -v10
	s_wait_alu 0xfffd
	v_cndmask_b32_e32 v22, v12, v13, vcc_lo
	v_cvt_f64_f32_e32 v[12:13], v24
	v_cmp_lt_i32_e32 vcc_lo, 5, v14
	s_wait_alu 0xf1ff
	v_cndmask_b32_e64 v0, 0, 1, s0
	v_cmp_eq_u32_e64 s0, 3, v14
	v_lshrrev_b32_e32 v24, 8, v1
	v_lshrrev_b32_e32 v14, 16, v15
	;; [unrolled: 1-line block ×3, first 2 shown]
	v_sub_nc_u32_e32 v23, 0x3f1, v26
	s_or_b32 vcc_lo, s0, vcc_lo
	v_and_or_b32 v0, 0xffe, v24, v0
	v_and_or_b32 v14, 0x8000, v14, v22
	s_wait_alu 0xfffe
	v_add_co_ci_u32_e32 v15, vcc_lo, 0, v15, vcc_lo
	v_cmp_ne_u32_e32 vcc_lo, 0, v2
	v_or_b32_e32 v24, 0x1000, v0
	v_med3_i32 v23, v23, 0, 13
	v_add_nc_u32_e32 v20, 0xfffffc10, v26
	v_cvt_f32_f16_e32 v6, v6
	s_wait_alu 0xfffd
	v_cndmask_b32_e64 v2, 0, 1, vcc_lo
	v_cmp_gt_i32_e32 vcc_lo, 31, v16
	v_lshrrev_b32_e32 v21, v23, v24
	v_lshrrev_b32_e32 v1, 16, v1
	s_delay_alu instid0(VALU_DEP_4)
	v_lshl_or_b32 v2, v2, 9, 0x7c00
	s_wait_alu 0xfffd
	v_cndmask_b32_e32 v15, 0x7c00, v15, vcc_lo
	v_cmp_eq_u32_e32 vcc_lo, 0x40f, v16
	v_lshlrev_b32_e32 v22, v23, v21
	v_lshrrev_b32_e32 v16, 16, v3
	v_and_or_b32 v4, 0x1ff, v5, v4
	v_and_b32_e32 v23, 0xffff, v14
	s_wait_alu 0xfffd
	v_cndmask_b32_e32 v15, v15, v2, vcc_lo
	v_add_co_u32 v2, vcc_lo, v8, s22
	s_wait_alu 0xfffd
	v_add_co_ci_u32_e32 v3, vcc_lo, s23, v9, vcc_lo
	v_cmp_ne_u32_e32 vcc_lo, v22, v24
	v_lshrrev_b32_e32 v10, 8, v5
	v_bfe_u32 v17, v5, 20, 11
	v_mul_f64_e32 v[12:13], s[24:25], v[12:13]
	v_and_or_b32 v16, 0x8000, v16, v15
	s_wait_alu 0xfffd
	v_cndmask_b32_e64 v14, 0, 1, vcc_lo
	v_cmp_ne_u32_e32 vcc_lo, 0, v4
	v_lshl_or_b32 v15, v20, 12, v0
	global_store_b32 v[8:9], v18, off
	global_store_b32 v[2:3], v19, off
	v_lshrrev_b32_e32 v18, 16, v11
	v_or_b32_e32 v14, v21, v14
	s_wait_alu 0xfffd
	v_cndmask_b32_e64 v4, 0, 1, vcc_lo
	v_cmp_gt_i32_e32 vcc_lo, 1, v20
	s_wait_loadcnt 0x1
	v_lshrrev_b32_e32 v19, 16, v7
	v_lshl_or_b32 v16, v16, 16, v23
	v_lshrrev_b32_e32 v5, 16, v5
	v_and_or_b32 v4, 0xffe, v10, v4
	v_sub_nc_u32_e32 v10, 0x3f1, v17
	s_wait_alu 0xfffd
	v_cndmask_b32_e32 v21, v15, v14, vcc_lo
	v_cvt_f64_f32_e32 v[14:15], v6
	v_add_co_u32 v2, vcc_lo, v2, s22
	v_or_b32_e32 v6, 0x1000, v4
	v_med3_i32 v10, v10, 0, 13
	v_and_b32_e32 v8, 7, v21
	s_wait_alu 0xfffd
	v_add_co_ci_u32_e32 v3, vcc_lo, s23, v3, vcc_lo
	s_delay_alu instid0(VALU_DEP_3) | instskip(NEXT) | instid1(VALU_DEP_3)
	v_lshrrev_b32_e32 v9, v10, v6
	v_cmp_lt_i32_e32 vcc_lo, 5, v8
	v_cmp_eq_u32_e64 s0, 3, v8
	v_lshrrev_b32_e32 v8, 2, v21
	s_delay_alu instid0(VALU_DEP_4) | instskip(NEXT) | instid1(VALU_DEP_3)
	v_lshlrev_b32_e32 v10, v10, v9
	s_or_b32 vcc_lo, s0, vcc_lo
	s_wait_alu 0xfffe
	s_delay_alu instid0(VALU_DEP_2) | instskip(NEXT) | instid1(VALU_DEP_2)
	v_add_co_ci_u32_e32 v21, vcc_lo, 0, v8, vcc_lo
	v_cmp_ne_u32_e64 s1, v10, v6
	v_add_nc_u32_e32 v10, 0xfffffc10, v17
	v_mul_f16_e32 v17, v18, v19
	v_cmp_ne_u32_e32 vcc_lo, 0, v0
	v_lshrrev_b32_e32 v22, 8, v13
	s_wait_alu 0xf1ff
	v_cndmask_b32_e64 v6, 0, 1, s1
	v_lshl_or_b32 v8, v10, 12, v4
	v_fmac_f16_e32 v17, v11, v7
	s_wait_alu 0xfffd
	v_cndmask_b32_e64 v0, 0, 1, vcc_lo
	v_cmp_gt_i32_e32 vcc_lo, 1, v10
	v_or_b32_e32 v6, v9, v6
	v_and_or_b32 v9, 0x1ff, v13, v12
	v_cvt_f32_f16_e32 v12, v17
	v_lshl_or_b32 v0, v0, 9, 0x7c00
	v_cmp_eq_u32_e64 s1, 0x40f, v20
	s_wait_alu 0xfffd
	v_cndmask_b32_e32 v6, v8, v6, vcc_lo
	v_cmp_ne_u32_e32 vcc_lo, 0, v9
	v_cvt_f64_f32_e32 v[8:9], v12
	v_bfe_u32 v12, v13, 20, 11
	v_mul_f64_e32 v[14:15], s[24:25], v[14:15]
	v_and_b32_e32 v23, 7, v6
	s_wait_alu 0xfffd
	v_cndmask_b32_e64 v17, 0, 1, vcc_lo
	v_cmp_gt_i32_e32 vcc_lo, 31, v20
	v_lshrrev_b32_e32 v6, 2, v6
	v_cmp_eq_u32_e64 s0, 3, v23
	s_delay_alu instid0(VALU_DEP_4)
	v_and_or_b32 v17, 0xffe, v22, v17
	v_sub_nc_u32_e32 v22, 0x3f1, v12
	s_wait_alu 0xfffd
	v_cndmask_b32_e32 v21, 0x7c00, v21, vcc_lo
	v_cmp_lt_i32_e32 vcc_lo, 5, v23
	v_add_nc_u32_e32 v12, 0xfffffc10, v12
	v_or_b32_e32 v23, 0x1000, v17
	v_med3_i32 v22, v22, 0, 13
	s_wait_alu 0xf1ff
	v_cndmask_b32_e64 v0, v21, v0, s1
	s_or_b32 vcc_lo, s0, vcc_lo
	s_wait_alu 0xfffe
	v_add_co_ci_u32_e32 v6, vcc_lo, 0, v6, vcc_lo
	v_lshrrev_b32_e32 v20, v22, v23
	v_cmp_ne_u32_e32 vcc_lo, 0, v4
	v_and_or_b32 v21, 0x8000, v1, v0
	s_delay_alu instid0(VALU_DEP_3) | instskip(SKIP_4) | instid1(VALU_DEP_3)
	v_lshlrev_b32_e32 v0, v22, v20
	s_wait_alu 0xfffd
	v_cndmask_b32_e64 v4, 0, 1, vcc_lo
	v_cmp_gt_i32_e32 vcc_lo, 31, v10
	v_and_b32_e32 v21, 0xffff, v21
	v_lshl_or_b32 v4, v4, 9, 0x7c00
	s_wait_alu 0xfffd
	v_cndmask_b32_e32 v1, 0x7c00, v6, vcc_lo
	v_cmp_ne_u32_e32 vcc_lo, v0, v23
	v_add_nc_u32_e32 v6, 0x1900, v37
	v_mul_f64_e32 v[8:9], s[24:25], v[8:9]
	s_wait_alu 0xfffd
	v_cndmask_b32_e64 v22, 0, 1, vcc_lo
	v_cmp_eq_u32_e32 vcc_lo, 0x40f, v10
	v_mul_f16_e32 v10, v11, v19
	v_lshl_or_b32 v11, v12, 12, v17
	v_and_or_b32 v14, 0x1ff, v15, v14
	s_wait_alu 0xfffd
	v_cndmask_b32_e32 v4, v1, v4, vcc_lo
	ds_load_2addr_b32 v[0:1], v6 offset0:50 offset1:200
	v_or_b32_e32 v6, v20, v22
	v_fma_f16 v7, v7, v18, -v10
	v_cmp_gt_i32_e32 vcc_lo, 1, v12
	v_and_or_b32 v18, 0x8000, v5, v4
	s_delay_alu instid0(VALU_DEP_3)
	v_cvt_f32_f16_e32 v7, v7
	s_wait_alu 0xfffd
	v_cndmask_b32_e32 v6, v11, v6, vcc_lo
	v_cmp_ne_u32_e32 vcc_lo, 0, v14
	v_lshrrev_b32_e32 v11, 8, v15
	v_bfe_u32 v14, v15, 20, 11
	v_cvt_f64_f32_e32 v[4:5], v7
	v_and_b32_e32 v19, 7, v6
	s_wait_alu 0xfffd
	v_cndmask_b32_e64 v10, 0, 1, vcc_lo
	v_lshrrev_b32_e32 v6, 2, v6
	v_sub_nc_u32_e32 v7, 0x3f1, v14
	v_lshl_or_b32 v18, v18, 16, v21
	v_cmp_lt_i32_e32 vcc_lo, 5, v19
	v_and_or_b32 v20, 0xffe, v11, v10
	s_wait_dscnt 0x0
	v_lshrrev_b32_e32 v10, 16, v0
	s_wait_loadcnt 0x0
	v_lshrrev_b32_e32 v11, 16, v25
	v_cmp_eq_u32_e64 s0, 3, v19
	v_med3_i32 v7, v7, 0, 13
	v_or_b32_e32 v22, 0x1000, v20
	v_add_nc_u32_e32 v14, 0xfffffc10, v14
	v_mul_f16_e32 v23, v10, v11
	s_or_b32 vcc_lo, s0, vcc_lo
	v_lshrrev_b32_e32 v15, 16, v15
	s_wait_alu 0xfffe
	v_add_co_ci_u32_e32 v6, vcc_lo, 0, v6, vcc_lo
	v_lshrrev_b32_e32 v19, v7, v22
	v_fmac_f16_e32 v23, v0, v25
	v_cmp_ne_u32_e32 vcc_lo, 0, v17
	v_and_or_b32 v8, 0x1ff, v9, v8
	v_mul_f16_e32 v0, v0, v11
	v_lshlrev_b32_e32 v21, v7, v19
	v_cvt_f32_f16_e32 v7, v23
	s_wait_alu 0xfffd
	v_cndmask_b32_e64 v17, 0, 1, vcc_lo
	v_cmp_gt_i32_e32 vcc_lo, 31, v12
	v_lshrrev_b32_e32 v11, 8, v9
	v_fma_f16 v0, v25, v10, -v0
	v_lshl_or_b32 v10, v14, 12, v20
	v_lshl_or_b32 v17, v17, 9, 0x7c00
	s_wait_alu 0xfffd
	v_cndmask_b32_e32 v23, 0x7c00, v6, vcc_lo
	v_cvt_f64_f32_e32 v[6:7], v7
	v_cmp_ne_u32_e32 vcc_lo, v21, v22
	v_cvt_f32_f16_e32 v0, v0
	v_mul_f64_e32 v[4:5], s[24:25], v[4:5]
	s_wait_alu 0xfffd
	v_cndmask_b32_e64 v21, 0, 1, vcc_lo
	v_cmp_ne_u32_e32 vcc_lo, 0, v8
	s_delay_alu instid0(VALU_DEP_2)
	v_or_b32_e32 v19, v19, v21
	s_wait_alu 0xfffd
	v_cndmask_b32_e64 v8, 0, 1, vcc_lo
	v_bfe_u32 v21, v9, 20, 11
	v_cmp_gt_i32_e32 vcc_lo, 1, v14
	v_lshrrev_b32_e32 v9, 16, v9
	s_delay_alu instid0(VALU_DEP_4) | instskip(NEXT) | instid1(VALU_DEP_4)
	v_and_or_b32 v8, 0xffe, v11, v8
	v_sub_nc_u32_e32 v11, 0x3f1, v21
	s_wait_alu 0xfffd
	v_cndmask_b32_e32 v19, v10, v19, vcc_lo
	v_cmp_eq_u32_e32 vcc_lo, 0x40f, v12
	v_add_nc_u32_e32 v21, 0xfffffc10, v21
	v_or_b32_e32 v22, 0x1000, v8
	v_med3_i32 v24, v11, 0, 13
	v_cvt_f64_f32_e32 v[10:11], v0
	s_wait_alu 0xfffd
	v_dual_cndmask_b32 v0, v23, v17 :: v_dual_and_b32 v23, 7, v19
	v_lshrrev_b32_e32 v17, 16, v13
	v_add_co_u32 v12, vcc_lo, v2, s22
	v_lshrrev_b32_e32 v25, v24, v22
	s_wait_alu 0xfffd
	v_add_co_ci_u32_e32 v13, vcc_lo, s23, v3, vcc_lo
	v_cmp_lt_i32_e32 vcc_lo, 5, v23
	v_cmp_eq_u32_e64 s0, 3, v23
	v_and_or_b32 v0, 0x8000, v17, v0
	v_lshrrev_b32_e32 v17, 2, v19
	v_lshlrev_b32_e32 v24, v24, v25
	v_mul_f64_e32 v[6:7], s[24:25], v[6:7]
	s_or_b32 vcc_lo, s0, vcc_lo
	v_and_b32_e32 v0, 0xffff, v0
	s_wait_alu 0xfffe
	v_add_co_ci_u32_e32 v17, vcc_lo, 0, v17, vcc_lo
	v_cmp_ne_u32_e64 s1, v24, v22
	v_cmp_ne_u32_e32 vcc_lo, 0, v20
	v_lshl_or_b32 v22, v21, 12, v8
	v_and_or_b32 v4, 0x1ff, v5, v4
	s_wait_alu 0xf1ff
	v_cndmask_b32_e64 v19, 0, 1, s1
	s_wait_alu 0xfffd
	v_cndmask_b32_e64 v20, 0, 1, vcc_lo
	v_cmp_gt_i32_e32 vcc_lo, 31, v14
	s_delay_alu instid0(VALU_DEP_3) | instskip(NEXT) | instid1(VALU_DEP_3)
	v_or_b32_e32 v19, v25, v19
	v_lshl_or_b32 v20, v20, 9, 0x7c00
	s_wait_alu 0xfffd
	v_cndmask_b32_e32 v17, 0x7c00, v17, vcc_lo
	v_cmp_gt_i32_e32 vcc_lo, 1, v21
	s_wait_alu 0xfffd
	v_cndmask_b32_e32 v19, v22, v19, vcc_lo
	v_cmp_eq_u32_e32 vcc_lo, 0x40f, v14
	v_mul_f64_e32 v[10:11], s[24:25], v[10:11]
	v_bfe_u32 v22, v5, 20, 11
	s_wait_alu 0xfffd
	v_cndmask_b32_e32 v14, v17, v20, vcc_lo
	v_cmp_ne_u32_e32 vcc_lo, 0, v4
	v_and_b32_e32 v17, 7, v19
	v_lshrrev_b32_e32 v20, 8, v5
	v_lshrrev_b32_e32 v5, 16, v5
	v_and_or_b32 v14, 0x8000, v15, v14
	s_wait_alu 0xfffd
	v_cndmask_b32_e64 v4, 0, 1, vcc_lo
	v_cmp_lt_i32_e32 vcc_lo, 5, v17
	v_cmp_eq_u32_e64 s0, 3, v17
	v_sub_nc_u32_e32 v15, 0x3f1, v22
	v_lshl_or_b32 v0, v14, 16, v0
	v_lshrrev_b32_e32 v14, 2, v19
	v_and_or_b32 v4, 0xffe, v20, v4
	s_or_b32 vcc_lo, s0, vcc_lo
	v_med3_i32 v15, v15, 0, 13
	v_and_or_b32 v6, 0x1ff, v7, v6
	s_wait_alu 0xfffe
	v_add_co_ci_u32_e32 v14, vcc_lo, 0, v14, vcc_lo
	v_or_b32_e32 v17, 0x1000, v4
	v_cmp_ne_u32_e32 vcc_lo, 0, v8
	v_lshrrev_b32_e32 v20, 8, v7
	v_bfe_u32 v23, v7, 20, 11
	v_lshrrev_b32_e32 v7, 16, v7
	v_lshrrev_b32_e32 v19, v15, v17
	s_wait_alu 0xfffd
	v_cndmask_b32_e64 v8, 0, 1, vcc_lo
	v_cmp_gt_i32_e32 vcc_lo, 31, v21
	s_delay_alu instid0(VALU_DEP_3) | instskip(NEXT) | instid1(VALU_DEP_3)
	v_lshlrev_b32_e32 v15, v15, v19
	v_lshl_or_b32 v8, v8, 9, 0x7c00
	s_wait_alu 0xfffd
	v_cndmask_b32_e32 v14, 0x7c00, v14, vcc_lo
	v_cmp_ne_u32_e32 vcc_lo, 0, v6
	v_and_or_b32 v10, 0x1ff, v11, v10
	s_wait_alu 0xfffd
	v_cndmask_b32_e64 v6, 0, 1, vcc_lo
	v_cmp_ne_u32_e32 vcc_lo, v15, v17
	v_add_nc_u32_e32 v17, 0xfffffc10, v22
	v_bfe_u32 v22, v11, 20, 11
	s_delay_alu instid0(VALU_DEP_4)
	v_and_or_b32 v6, 0xffe, v20, v6
	s_wait_alu 0xfffd
	v_cndmask_b32_e64 v15, 0, 1, vcc_lo
	v_sub_nc_u32_e32 v20, 0x3f1, v23
	v_cmp_eq_u32_e32 vcc_lo, 0x40f, v21
	v_lshrrev_b32_e32 v21, 8, v11
	s_delay_alu instid0(VALU_DEP_3)
	v_med3_i32 v20, v20, 0, 13
	s_wait_alu 0xfffd
	v_cndmask_b32_e32 v8, v14, v8, vcc_lo
	v_or_b32_e32 v14, v19, v15
	v_lshl_or_b32 v15, v17, 12, v4
	v_or_b32_e32 v19, 0x1000, v6
	v_cmp_gt_i32_e32 vcc_lo, 1, v17
	v_and_or_b32 v8, 0x8000, v9, v8
	s_wait_alu 0xfffd
	v_cndmask_b32_e32 v14, v15, v14, vcc_lo
	v_lshrrev_b32_e32 v15, v20, v19
	v_cmp_ne_u32_e32 vcc_lo, 0, v10
	v_and_b32_e32 v8, 0xffff, v8
	s_delay_alu instid0(VALU_DEP_4) | instskip(NEXT) | instid1(VALU_DEP_4)
	v_and_b32_e32 v24, 7, v14
	v_lshlrev_b32_e32 v20, v20, v15
	s_wait_alu 0xfffd
	v_cndmask_b32_e64 v10, 0, 1, vcc_lo
	v_lshrrev_b32_e32 v14, 2, v14
	v_cmp_lt_i32_e32 vcc_lo, 5, v24
	v_cmp_ne_u32_e64 s0, v20, v19
	s_delay_alu instid0(VALU_DEP_4)
	v_and_or_b32 v9, 0xffe, v21, v10
	v_sub_nc_u32_e32 v10, 0x3f1, v22
	v_add_nc_u32_e32 v21, 0xfffffc10, v23
	s_wait_alu 0xf1ff
	v_cndmask_b32_e64 v19, 0, 1, s0
	v_cmp_eq_u32_e64 s0, 3, v24
	v_or_b32_e32 v20, 0x1000, v9
	v_med3_i32 v10, v10, 0, 13
	v_lshl_or_b32 v23, v21, 12, v6
	v_or_b32_e32 v15, v15, v19
	s_or_b32 vcc_lo, s0, vcc_lo
	s_wait_alu 0xfffe
	v_add_co_ci_u32_e32 v14, vcc_lo, 0, v14, vcc_lo
	v_lshrrev_b32_e32 v19, v10, v20
	v_cmp_gt_i32_e32 vcc_lo, 1, v21
	s_delay_alu instid0(VALU_DEP_2)
	v_lshlrev_b32_e32 v10, v10, v19
	s_wait_alu 0xfffd
	v_cndmask_b32_e32 v15, v23, v15, vcc_lo
	v_cmp_ne_u32_e32 vcc_lo, 0, v4
	s_wait_alu 0xfffd
	v_cndmask_b32_e64 v4, 0, 1, vcc_lo
	v_cmp_ne_u32_e32 vcc_lo, v10, v20
	v_add_nc_u32_e32 v20, 0xfffffc10, v22
	v_and_b32_e32 v22, 7, v15
	s_delay_alu instid0(VALU_DEP_4)
	v_lshl_or_b32 v4, v4, 9, 0x7c00
	s_wait_alu 0xfffd
	v_cndmask_b32_e64 v10, 0, 1, vcc_lo
	v_cmp_gt_i32_e32 vcc_lo, 31, v17
	v_cmp_gt_i32_e64 s1, 1, v20
	v_cmp_eq_u32_e64 s0, 3, v22
	s_delay_alu instid0(VALU_DEP_4)
	v_or_b32_e32 v10, v19, v10
	v_lshl_or_b32 v19, v20, 12, v9
	s_wait_alu 0xfffd
	v_cndmask_b32_e32 v14, 0x7c00, v14, vcc_lo
	v_cmp_lt_i32_e32 vcc_lo, 5, v22
	s_wait_alu 0xf1ff
	v_cndmask_b32_e64 v10, v19, v10, s1
	v_cmp_eq_u32_e64 s1, 0x40f, v17
	s_or_b32 vcc_lo, s0, vcc_lo
	s_delay_alu instid0(VALU_DEP_1)
	v_cndmask_b32_e64 v4, v14, v4, s1
	v_lshrrev_b32_e32 v14, 2, v15
	v_and_b32_e32 v15, 7, v10
	v_lshrrev_b32_e32 v10, 2, v10
	v_cmp_gt_i32_e64 s1, 31, v21
	s_wait_alu 0xfffe
	v_add_co_ci_u32_e32 v14, vcc_lo, 0, v14, vcc_lo
	v_cmp_ne_u32_e32 vcc_lo, 0, v6
	v_cmp_eq_u32_e64 s0, 3, v15
	s_wait_alu 0xf1ff
	s_delay_alu instid0(VALU_DEP_3) | instskip(SKIP_3) | instid1(VALU_DEP_2)
	v_cndmask_b32_e64 v14, 0x7c00, v14, s1
	s_wait_alu 0xfffd
	v_cndmask_b32_e64 v6, 0, 1, vcc_lo
	v_cmp_lt_i32_e32 vcc_lo, 5, v15
	v_lshl_or_b32 v6, v6, 9, 0x7c00
	s_or_b32 vcc_lo, s0, vcc_lo
	s_wait_alu 0xfffe
	v_add_co_ci_u32_e32 v10, vcc_lo, 0, v10, vcc_lo
	v_cmp_ne_u32_e32 vcc_lo, 0, v9
	s_wait_alu 0xfffd
	v_cndmask_b32_e64 v9, 0, 1, vcc_lo
	v_cmp_eq_u32_e32 vcc_lo, 0x40f, v21
	s_delay_alu instid0(VALU_DEP_2) | instskip(SKIP_4) | instid1(VALU_DEP_3)
	v_lshl_or_b32 v9, v9, 9, 0x7c00
	s_wait_alu 0xfffd
	v_cndmask_b32_e32 v6, v14, v6, vcc_lo
	v_cmp_gt_i32_e32 vcc_lo, 31, v20
	v_and_or_b32 v14, 0x8000, v5, v4
	v_and_or_b32 v6, 0x8000, v7, v6
	s_wait_alu 0xfffd
	v_cndmask_b32_e32 v10, 0x7c00, v10, vcc_lo
	v_cmp_eq_u32_e32 vcc_lo, 0x40f, v20
	s_wait_alu 0xfffd
	s_delay_alu instid0(VALU_DEP_2)
	v_cndmask_b32_e32 v7, v10, v9, vcc_lo
	v_lshrrev_b32_e32 v9, 16, v11
	v_add_co_u32 v4, vcc_lo, v12, s22
	s_wait_alu 0xfffd
	v_add_co_ci_u32_e32 v5, vcc_lo, s23, v13, vcc_lo
	v_lshl_or_b32 v10, v14, 16, v8
	v_and_or_b32 v8, 0x8000, v9, v7
	v_and_b32_e32 v9, 0xffff, v6
	v_add_co_u32 v6, vcc_lo, v4, s22
	s_wait_alu 0xfffd
	v_add_co_ci_u32_e32 v7, vcc_lo, s23, v5, vcc_lo
	s_delay_alu instid0(VALU_DEP_3) | instskip(NEXT) | instid1(VALU_DEP_3)
	v_lshl_or_b32 v11, v8, 16, v9
	v_add_co_u32 v8, vcc_lo, v6, s22
	s_wait_alu 0xfffd
	s_delay_alu instid0(VALU_DEP_3)
	v_add_co_ci_u32_e32 v9, vcc_lo, s23, v7, vcc_lo
	global_store_b32 v[2:3], v16, off
	global_store_b32 v[12:13], v18, off
	;; [unrolled: 1-line block ×5, first 2 shown]
	global_load_b32 v0, v37, s[20:21] offset:7200
	v_lshrrev_b32_e32 v2, 16, v1
	s_wait_loadcnt 0x0
	v_lshrrev_b32_e32 v3, 16, v0
	s_delay_alu instid0(VALU_DEP_1) | instskip(SKIP_1) | instid1(VALU_DEP_2)
	v_mul_f16_e32 v4, v2, v3
	v_mul_f16_e32 v3, v1, v3
	v_fmac_f16_e32 v4, v1, v0
	s_delay_alu instid0(VALU_DEP_2) | instskip(NEXT) | instid1(VALU_DEP_2)
	v_fma_f16 v0, v0, v2, -v3
	v_cvt_f32_f16_e32 v1, v4
	s_delay_alu instid0(VALU_DEP_2) | instskip(NEXT) | instid1(VALU_DEP_2)
	v_cvt_f32_f16_e32 v2, v0
	v_cvt_f64_f32_e32 v[0:1], v1
	s_delay_alu instid0(VALU_DEP_2) | instskip(NEXT) | instid1(VALU_DEP_2)
	v_cvt_f64_f32_e32 v[2:3], v2
	v_mul_f64_e32 v[0:1], s[24:25], v[0:1]
	s_delay_alu instid0(VALU_DEP_2) | instskip(NEXT) | instid1(VALU_DEP_2)
	v_mul_f64_e32 v[2:3], s[24:25], v[2:3]
	v_and_or_b32 v0, 0x1ff, v1, v0
	s_delay_alu instid0(VALU_DEP_2)
	v_and_or_b32 v2, 0x1ff, v3, v2
	v_lshrrev_b32_e32 v4, 8, v1
	v_bfe_u32 v5, v1, 20, 11
	v_lshrrev_b32_e32 v6, 8, v3
	v_cmp_ne_u32_e32 vcc_lo, 0, v0
	v_bfe_u32 v7, v3, 20, 11
	v_lshrrev_b32_e32 v1, 16, v1
	v_lshrrev_b32_e32 v3, 16, v3
	s_wait_alu 0xfffd
	v_cndmask_b32_e64 v0, 0, 1, vcc_lo
	v_cmp_ne_u32_e32 vcc_lo, 0, v2
	s_delay_alu instid0(VALU_DEP_2)
	v_and_or_b32 v0, 0xffe, v4, v0
	s_wait_alu 0xfffd
	v_cndmask_b32_e64 v2, 0, 1, vcc_lo
	v_sub_nc_u32_e32 v4, 0x3f1, v5
	v_add_nc_u32_e32 v5, 0xfffffc10, v5
	v_or_b32_e32 v10, 0x1000, v0
	s_delay_alu instid0(VALU_DEP_4) | instskip(SKIP_3) | instid1(VALU_DEP_4)
	v_and_or_b32 v2, 0xffe, v6, v2
	v_sub_nc_u32_e32 v6, 0x3f1, v7
	v_med3_i32 v4, v4, 0, 13
	v_add_nc_u32_e32 v7, 0xfffffc10, v7
	v_or_b32_e32 v11, 0x1000, v2
	s_delay_alu instid0(VALU_DEP_4) | instskip(NEXT) | instid1(VALU_DEP_4)
	v_med3_i32 v6, v6, 0, 13
	v_lshrrev_b32_e32 v12, v4, v10
	s_delay_alu instid0(VALU_DEP_2) | instskip(NEXT) | instid1(VALU_DEP_2)
	v_lshrrev_b32_e32 v13, v6, v11
	v_lshlrev_b32_e32 v4, v4, v12
	s_delay_alu instid0(VALU_DEP_2) | instskip(NEXT) | instid1(VALU_DEP_2)
	v_lshlrev_b32_e32 v6, v6, v13
	v_cmp_ne_u32_e32 vcc_lo, v4, v10
	v_lshl_or_b32 v10, v5, 12, v0
	s_wait_alu 0xfffd
	v_cndmask_b32_e64 v4, 0, 1, vcc_lo
	v_cmp_ne_u32_e32 vcc_lo, v6, v11
	v_lshl_or_b32 v11, v7, 12, v2
	s_delay_alu instid0(VALU_DEP_3) | instskip(SKIP_3) | instid1(VALU_DEP_2)
	v_or_b32_e32 v4, v12, v4
	s_wait_alu 0xfffd
	v_cndmask_b32_e64 v6, 0, 1, vcc_lo
	v_cmp_gt_i32_e32 vcc_lo, 1, v5
	v_or_b32_e32 v6, v13, v6
	s_wait_alu 0xfffd
	v_cndmask_b32_e32 v4, v10, v4, vcc_lo
	v_cmp_gt_i32_e32 vcc_lo, 1, v7
	s_delay_alu instid0(VALU_DEP_2) | instskip(SKIP_3) | instid1(VALU_DEP_3)
	v_and_b32_e32 v10, 7, v4
	s_wait_alu 0xfffd
	v_cndmask_b32_e32 v6, v11, v6, vcc_lo
	v_lshrrev_b32_e32 v4, 2, v4
	v_cmp_lt_i32_e32 vcc_lo, 5, v10
	s_delay_alu instid0(VALU_DEP_3) | instskip(SKIP_2) | instid1(VALU_DEP_3)
	v_and_b32_e32 v11, 7, v6
	v_cmp_eq_u32_e64 s0, 3, v10
	v_lshrrev_b32_e32 v6, 2, v6
	v_cmp_lt_i32_e64 s1, 5, v11
	s_delay_alu instid0(VALU_DEP_3)
	s_or_b32 vcc_lo, s0, vcc_lo
	v_cmp_eq_u32_e64 s2, 3, v11
	s_wait_alu 0xfffe
	v_add_co_ci_u32_e32 v4, vcc_lo, 0, v4, vcc_lo
	v_cmp_ne_u32_e32 vcc_lo, 0, v0
	s_wait_alu 0xfffd
	v_cndmask_b32_e64 v0, 0, 1, vcc_lo
	s_or_b32 vcc_lo, s2, s1
	s_wait_alu 0xfffe
	v_add_co_ci_u32_e32 v6, vcc_lo, 0, v6, vcc_lo
	v_cmp_ne_u32_e32 vcc_lo, 0, v2
	v_lshl_or_b32 v0, v0, 9, 0x7c00
	s_wait_alu 0xfffd
	v_cndmask_b32_e64 v2, 0, 1, vcc_lo
	v_cmp_gt_i32_e32 vcc_lo, 31, v5
	s_delay_alu instid0(VALU_DEP_2)
	v_lshl_or_b32 v2, v2, 9, 0x7c00
	s_wait_alu 0xfffd
	v_cndmask_b32_e32 v4, 0x7c00, v4, vcc_lo
	v_cmp_gt_i32_e32 vcc_lo, 31, v7
	s_wait_alu 0xfffd
	v_cndmask_b32_e32 v6, 0x7c00, v6, vcc_lo
	v_cmp_eq_u32_e32 vcc_lo, 0x40f, v5
	s_wait_alu 0xfffd
	v_cndmask_b32_e32 v0, v4, v0, vcc_lo
	v_cmp_eq_u32_e32 vcc_lo, 0x40f, v7
	s_delay_alu instid0(VALU_DEP_2) | instskip(SKIP_2) | instid1(VALU_DEP_2)
	v_and_or_b32 v0, 0x8000, v1, v0
	s_wait_alu 0xfffd
	v_cndmask_b32_e32 v2, v6, v2, vcc_lo
	v_and_b32_e32 v0, 0xffff, v0
	s_delay_alu instid0(VALU_DEP_2) | instskip(NEXT) | instid1(VALU_DEP_1)
	v_and_or_b32 v1, 0x8000, v3, v2
	v_lshl_or_b32 v2, v1, 16, v0
	v_add_co_u32 v0, vcc_lo, v8, s22
	s_wait_alu 0xfffd
	v_add_co_ci_u32_e32 v1, vcc_lo, s23, v9, vcc_lo
	global_store_b32 v[0:1], v2, off
.LBB0_23:
	s_nop 0
	s_sendmsg sendmsg(MSG_DEALLOC_VGPRS)
	s_endpgm
	.section	.rodata,"a",@progbits
	.p2align	6, 0x0
	.amdhsa_kernel bluestein_single_fwd_len1950_dim1_half_op_CI_CI
		.amdhsa_group_segment_fixed_size 7800
		.amdhsa_private_segment_fixed_size 0
		.amdhsa_kernarg_size 104
		.amdhsa_user_sgpr_count 2
		.amdhsa_user_sgpr_dispatch_ptr 0
		.amdhsa_user_sgpr_queue_ptr 0
		.amdhsa_user_sgpr_kernarg_segment_ptr 1
		.amdhsa_user_sgpr_dispatch_id 0
		.amdhsa_user_sgpr_private_segment_size 0
		.amdhsa_wavefront_size32 1
		.amdhsa_uses_dynamic_stack 0
		.amdhsa_enable_private_segment 0
		.amdhsa_system_sgpr_workgroup_id_x 1
		.amdhsa_system_sgpr_workgroup_id_y 0
		.amdhsa_system_sgpr_workgroup_id_z 0
		.amdhsa_system_sgpr_workgroup_info 0
		.amdhsa_system_vgpr_workitem_id 0
		.amdhsa_next_free_vgpr 203
		.amdhsa_next_free_sgpr 26
		.amdhsa_reserve_vcc 1
		.amdhsa_float_round_mode_32 0
		.amdhsa_float_round_mode_16_64 0
		.amdhsa_float_denorm_mode_32 3
		.amdhsa_float_denorm_mode_16_64 3
		.amdhsa_fp16_overflow 0
		.amdhsa_workgroup_processor_mode 1
		.amdhsa_memory_ordered 1
		.amdhsa_forward_progress 0
		.amdhsa_round_robin_scheduling 0
		.amdhsa_exception_fp_ieee_invalid_op 0
		.amdhsa_exception_fp_denorm_src 0
		.amdhsa_exception_fp_ieee_div_zero 0
		.amdhsa_exception_fp_ieee_overflow 0
		.amdhsa_exception_fp_ieee_underflow 0
		.amdhsa_exception_fp_ieee_inexact 0
		.amdhsa_exception_int_div_zero 0
	.end_amdhsa_kernel
	.text
.Lfunc_end0:
	.size	bluestein_single_fwd_len1950_dim1_half_op_CI_CI, .Lfunc_end0-bluestein_single_fwd_len1950_dim1_half_op_CI_CI
                                        ; -- End function
	.section	.AMDGPU.csdata,"",@progbits
; Kernel info:
; codeLenInByte = 25484
; NumSgprs: 28
; NumVgprs: 203
; ScratchSize: 0
; MemoryBound: 0
; FloatMode: 240
; IeeeMode: 1
; LDSByteSize: 7800 bytes/workgroup (compile time only)
; SGPRBlocks: 3
; VGPRBlocks: 25
; NumSGPRsForWavesPerEU: 28
; NumVGPRsForWavesPerEU: 203
; Occupancy: 7
; WaveLimiterHint : 1
; COMPUTE_PGM_RSRC2:SCRATCH_EN: 0
; COMPUTE_PGM_RSRC2:USER_SGPR: 2
; COMPUTE_PGM_RSRC2:TRAP_HANDLER: 0
; COMPUTE_PGM_RSRC2:TGID_X_EN: 1
; COMPUTE_PGM_RSRC2:TGID_Y_EN: 0
; COMPUTE_PGM_RSRC2:TGID_Z_EN: 0
; COMPUTE_PGM_RSRC2:TIDIG_COMP_CNT: 0
	.text
	.p2alignl 7, 3214868480
	.fill 96, 4, 3214868480
	.type	__hip_cuid_bb095234f7c5ec5b,@object ; @__hip_cuid_bb095234f7c5ec5b
	.section	.bss,"aw",@nobits
	.globl	__hip_cuid_bb095234f7c5ec5b
__hip_cuid_bb095234f7c5ec5b:
	.byte	0                               ; 0x0
	.size	__hip_cuid_bb095234f7c5ec5b, 1

	.ident	"AMD clang version 19.0.0git (https://github.com/RadeonOpenCompute/llvm-project roc-6.4.0 25133 c7fe45cf4b819c5991fe208aaa96edf142730f1d)"
	.section	".note.GNU-stack","",@progbits
	.addrsig
	.addrsig_sym __hip_cuid_bb095234f7c5ec5b
	.amdgpu_metadata
---
amdhsa.kernels:
  - .args:
      - .actual_access:  read_only
        .address_space:  global
        .offset:         0
        .size:           8
        .value_kind:     global_buffer
      - .actual_access:  read_only
        .address_space:  global
        .offset:         8
        .size:           8
        .value_kind:     global_buffer
      - .actual_access:  read_only
        .address_space:  global
        .offset:         16
        .size:           8
        .value_kind:     global_buffer
      - .actual_access:  read_only
        .address_space:  global
        .offset:         24
        .size:           8
        .value_kind:     global_buffer
      - .actual_access:  read_only
        .address_space:  global
        .offset:         32
        .size:           8
        .value_kind:     global_buffer
      - .offset:         40
        .size:           8
        .value_kind:     by_value
      - .address_space:  global
        .offset:         48
        .size:           8
        .value_kind:     global_buffer
      - .address_space:  global
        .offset:         56
        .size:           8
        .value_kind:     global_buffer
      - .address_space:  global
        .offset:         64
        .size:           8
        .value_kind:     global_buffer
      - .address_space:  global
        .offset:         72
        .size:           8
        .value_kind:     global_buffer
      - .offset:         80
        .size:           4
        .value_kind:     by_value
      - .address_space:  global
        .offset:         88
        .size:           8
        .value_kind:     global_buffer
      - .address_space:  global
        .offset:         96
        .size:           8
        .value_kind:     global_buffer
    .group_segment_fixed_size: 7800
    .kernarg_segment_align: 8
    .kernarg_segment_size: 104
    .language:       OpenCL C
    .language_version:
      - 2
      - 0
    .max_flat_workgroup_size: 195
    .name:           bluestein_single_fwd_len1950_dim1_half_op_CI_CI
    .private_segment_fixed_size: 0
    .sgpr_count:     28
    .sgpr_spill_count: 0
    .symbol:         bluestein_single_fwd_len1950_dim1_half_op_CI_CI.kd
    .uniform_work_group_size: 1
    .uses_dynamic_stack: false
    .vgpr_count:     203
    .vgpr_spill_count: 0
    .wavefront_size: 32
    .workgroup_processor_mode: 1
amdhsa.target:   amdgcn-amd-amdhsa--gfx1201
amdhsa.version:
  - 1
  - 2
...

	.end_amdgpu_metadata
